;; amdgpu-corpus repo=ROCm/composable_kernel kind=compiled arch=gfx1100 opt=O3
	.text
	.amdgcn_target "amdgcn-amd-amdhsa--gfx1100"
	.amdhsa_code_object_version 6
	.section	.text._ZN2ckL12flush_icacheEv,"axG",@progbits,_ZN2ckL12flush_icacheEv,comdat
	.globl	_ZN2ckL12flush_icacheEv         ; -- Begin function _ZN2ckL12flush_icacheEv
	.p2align	8
	.type	_ZN2ckL12flush_icacheEv,@function
_ZN2ckL12flush_icacheEv:                ; @_ZN2ckL12flush_icacheEv
; %bb.0:
	;;#ASMSTART
	s_icache_inv 
	s_nop 0 
	s_nop 0 
	;; [unrolled: 1-line block ×16, first 2 shown]
	
	;;#ASMEND
	s_endpgm
	.section	.rodata,"a",@progbits
	.p2align	6, 0x0
	.amdhsa_kernel _ZN2ckL12flush_icacheEv
		.amdhsa_group_segment_fixed_size 0
		.amdhsa_private_segment_fixed_size 0
		.amdhsa_kernarg_size 0
		.amdhsa_user_sgpr_count 15
		.amdhsa_user_sgpr_dispatch_ptr 0
		.amdhsa_user_sgpr_queue_ptr 0
		.amdhsa_user_sgpr_kernarg_segment_ptr 0
		.amdhsa_user_sgpr_dispatch_id 0
		.amdhsa_user_sgpr_private_segment_size 0
		.amdhsa_wavefront_size32 1
		.amdhsa_uses_dynamic_stack 0
		.amdhsa_enable_private_segment 0
		.amdhsa_system_sgpr_workgroup_id_x 1
		.amdhsa_system_sgpr_workgroup_id_y 0
		.amdhsa_system_sgpr_workgroup_id_z 0
		.amdhsa_system_sgpr_workgroup_info 0
		.amdhsa_system_vgpr_workitem_id 0
		.amdhsa_next_free_vgpr 1
		.amdhsa_next_free_sgpr 1
		.amdhsa_reserve_vcc 0
		.amdhsa_float_round_mode_32 0
		.amdhsa_float_round_mode_16_64 0
		.amdhsa_float_denorm_mode_32 3
		.amdhsa_float_denorm_mode_16_64 3
		.amdhsa_dx10_clamp 1
		.amdhsa_ieee_mode 1
		.amdhsa_fp16_overflow 0
		.amdhsa_workgroup_processor_mode 1
		.amdhsa_memory_ordered 1
		.amdhsa_forward_progress 0
		.amdhsa_shared_vgpr_count 0
		.amdhsa_exception_fp_ieee_invalid_op 0
		.amdhsa_exception_fp_denorm_src 0
		.amdhsa_exception_fp_ieee_div_zero 0
		.amdhsa_exception_fp_ieee_overflow 0
		.amdhsa_exception_fp_ieee_underflow 0
		.amdhsa_exception_fp_ieee_inexact 0
		.amdhsa_exception_int_div_zero 0
	.end_amdhsa_kernel
	.section	.text._ZN2ckL12flush_icacheEv,"axG",@progbits,_ZN2ckL12flush_icacheEv,comdat
.Lfunc_end0:
	.size	_ZN2ckL12flush_icacheEv, .Lfunc_end0-_ZN2ckL12flush_icacheEv
                                        ; -- End function
	.section	.AMDGPU.csdata,"",@progbits
; Kernel info:
; codeLenInByte = 344
; NumSgprs: 0
; NumVgprs: 0
; ScratchSize: 0
; MemoryBound: 0
; FloatMode: 240
; IeeeMode: 1
; LDSByteSize: 0 bytes/workgroup (compile time only)
; SGPRBlocks: 0
; VGPRBlocks: 0
; NumSGPRsForWavesPerEU: 1
; NumVGPRsForWavesPerEU: 1
; Occupancy: 16
; WaveLimiterHint : 0
; COMPUTE_PGM_RSRC2:SCRATCH_EN: 0
; COMPUTE_PGM_RSRC2:USER_SGPR: 15
; COMPUTE_PGM_RSRC2:TRAP_HANDLER: 0
; COMPUTE_PGM_RSRC2:TGID_X_EN: 1
; COMPUTE_PGM_RSRC2:TGID_Y_EN: 0
; COMPUTE_PGM_RSRC2:TGID_Z_EN: 0
; COMPUTE_PGM_RSRC2:TIDIG_COMP_CNT: 0
	.section	.text._ZN2ck27kernel_gemm_xdl_cshuffle_v3INS_28GridwiseGemm_xdl_cshuffle_v3INS_13tensor_layout4gemm8RowMajorENS3_11ColumnMajorES4_DF16_NS_7pk_i4_tEfDF16_DF16_NS_16tensor_operation12element_wise11PassThroughES9_S9_LNS7_6device18GemmSpecializationE0ELi256ELi1ELi128ELi128ELi128ELi64ELi8ELi16ELi16ELi16ELi8ELi2ENS_8SequenceIJLi8ELi32ELi1EEEENSC_IJLi1ELi0ELi2EEEESE_Li2ELi8ELi8ELb0ELi0ENSC_IJLi2ELi128ELi1EEEESE_SE_Li2ELi16ELi16ELb0ELi0ELi1ELi1ENSC_IJLi1ELi16ELi1ELi16EEEELi4ELNS_26BlockGemmPipelineSchedulerE0ELNS_24BlockGemmPipelineVersionE2EDF16_DF16_Lb0ELb1EEELb1ELNS_25InMemoryDataOperationEnumE1ELi2ELNS_10TailNumberE10EEEvNT_8ArgumentE,"axG",@progbits,_ZN2ck27kernel_gemm_xdl_cshuffle_v3INS_28GridwiseGemm_xdl_cshuffle_v3INS_13tensor_layout4gemm8RowMajorENS3_11ColumnMajorES4_DF16_NS_7pk_i4_tEfDF16_DF16_NS_16tensor_operation12element_wise11PassThroughES9_S9_LNS7_6device18GemmSpecializationE0ELi256ELi1ELi128ELi128ELi128ELi64ELi8ELi16ELi16ELi16ELi8ELi2ENS_8SequenceIJLi8ELi32ELi1EEEENSC_IJLi1ELi0ELi2EEEESE_Li2ELi8ELi8ELb0ELi0ENSC_IJLi2ELi128ELi1EEEESE_SE_Li2ELi16ELi16ELb0ELi0ELi1ELi1ENSC_IJLi1ELi16ELi1ELi16EEEELi4ELNS_26BlockGemmPipelineSchedulerE0ELNS_24BlockGemmPipelineVersionE2EDF16_DF16_Lb0ELb1EEELb1ELNS_25InMemoryDataOperationEnumE1ELi2ELNS_10TailNumberE10EEEvNT_8ArgumentE,comdat
	.protected	_ZN2ck27kernel_gemm_xdl_cshuffle_v3INS_28GridwiseGemm_xdl_cshuffle_v3INS_13tensor_layout4gemm8RowMajorENS3_11ColumnMajorES4_DF16_NS_7pk_i4_tEfDF16_DF16_NS_16tensor_operation12element_wise11PassThroughES9_S9_LNS7_6device18GemmSpecializationE0ELi256ELi1ELi128ELi128ELi128ELi64ELi8ELi16ELi16ELi16ELi8ELi2ENS_8SequenceIJLi8ELi32ELi1EEEENSC_IJLi1ELi0ELi2EEEESE_Li2ELi8ELi8ELb0ELi0ENSC_IJLi2ELi128ELi1EEEESE_SE_Li2ELi16ELi16ELb0ELi0ELi1ELi1ENSC_IJLi1ELi16ELi1ELi16EEEELi4ELNS_26BlockGemmPipelineSchedulerE0ELNS_24BlockGemmPipelineVersionE2EDF16_DF16_Lb0ELb1EEELb1ELNS_25InMemoryDataOperationEnumE1ELi2ELNS_10TailNumberE10EEEvNT_8ArgumentE ; -- Begin function _ZN2ck27kernel_gemm_xdl_cshuffle_v3INS_28GridwiseGemm_xdl_cshuffle_v3INS_13tensor_layout4gemm8RowMajorENS3_11ColumnMajorES4_DF16_NS_7pk_i4_tEfDF16_DF16_NS_16tensor_operation12element_wise11PassThroughES9_S9_LNS7_6device18GemmSpecializationE0ELi256ELi1ELi128ELi128ELi128ELi64ELi8ELi16ELi16ELi16ELi8ELi2ENS_8SequenceIJLi8ELi32ELi1EEEENSC_IJLi1ELi0ELi2EEEESE_Li2ELi8ELi8ELb0ELi0ENSC_IJLi2ELi128ELi1EEEESE_SE_Li2ELi16ELi16ELb0ELi0ELi1ELi1ENSC_IJLi1ELi16ELi1ELi16EEEELi4ELNS_26BlockGemmPipelineSchedulerE0ELNS_24BlockGemmPipelineVersionE2EDF16_DF16_Lb0ELb1EEELb1ELNS_25InMemoryDataOperationEnumE1ELi2ELNS_10TailNumberE10EEEvNT_8ArgumentE
	.globl	_ZN2ck27kernel_gemm_xdl_cshuffle_v3INS_28GridwiseGemm_xdl_cshuffle_v3INS_13tensor_layout4gemm8RowMajorENS3_11ColumnMajorES4_DF16_NS_7pk_i4_tEfDF16_DF16_NS_16tensor_operation12element_wise11PassThroughES9_S9_LNS7_6device18GemmSpecializationE0ELi256ELi1ELi128ELi128ELi128ELi64ELi8ELi16ELi16ELi16ELi8ELi2ENS_8SequenceIJLi8ELi32ELi1EEEENSC_IJLi1ELi0ELi2EEEESE_Li2ELi8ELi8ELb0ELi0ENSC_IJLi2ELi128ELi1EEEESE_SE_Li2ELi16ELi16ELb0ELi0ELi1ELi1ENSC_IJLi1ELi16ELi1ELi16EEEELi4ELNS_26BlockGemmPipelineSchedulerE0ELNS_24BlockGemmPipelineVersionE2EDF16_DF16_Lb0ELb1EEELb1ELNS_25InMemoryDataOperationEnumE1ELi2ELNS_10TailNumberE10EEEvNT_8ArgumentE
	.p2align	8
	.type	_ZN2ck27kernel_gemm_xdl_cshuffle_v3INS_28GridwiseGemm_xdl_cshuffle_v3INS_13tensor_layout4gemm8RowMajorENS3_11ColumnMajorES4_DF16_NS_7pk_i4_tEfDF16_DF16_NS_16tensor_operation12element_wise11PassThroughES9_S9_LNS7_6device18GemmSpecializationE0ELi256ELi1ELi128ELi128ELi128ELi64ELi8ELi16ELi16ELi16ELi8ELi2ENS_8SequenceIJLi8ELi32ELi1EEEENSC_IJLi1ELi0ELi2EEEESE_Li2ELi8ELi8ELb0ELi0ENSC_IJLi2ELi128ELi1EEEESE_SE_Li2ELi16ELi16ELb0ELi0ELi1ELi1ENSC_IJLi1ELi16ELi1ELi16EEEELi4ELNS_26BlockGemmPipelineSchedulerE0ELNS_24BlockGemmPipelineVersionE2EDF16_DF16_Lb0ELb1EEELb1ELNS_25InMemoryDataOperationEnumE1ELi2ELNS_10TailNumberE10EEEvNT_8ArgumentE,@function
_ZN2ck27kernel_gemm_xdl_cshuffle_v3INS_28GridwiseGemm_xdl_cshuffle_v3INS_13tensor_layout4gemm8RowMajorENS3_11ColumnMajorES4_DF16_NS_7pk_i4_tEfDF16_DF16_NS_16tensor_operation12element_wise11PassThroughES9_S9_LNS7_6device18GemmSpecializationE0ELi256ELi1ELi128ELi128ELi128ELi64ELi8ELi16ELi16ELi16ELi8ELi2ENS_8SequenceIJLi8ELi32ELi1EEEENSC_IJLi1ELi0ELi2EEEESE_Li2ELi8ELi8ELb0ELi0ENSC_IJLi2ELi128ELi1EEEESE_SE_Li2ELi16ELi16ELb0ELi0ELi1ELi1ENSC_IJLi1ELi16ELi1ELi16EEEELi4ELNS_26BlockGemmPipelineSchedulerE0ELNS_24BlockGemmPipelineVersionE2EDF16_DF16_Lb0ELb1EEELb1ELNS_25InMemoryDataOperationEnumE1ELi2ELNS_10TailNumberE10EEEvNT_8ArgumentE: ; @_ZN2ck27kernel_gemm_xdl_cshuffle_v3INS_28GridwiseGemm_xdl_cshuffle_v3INS_13tensor_layout4gemm8RowMajorENS3_11ColumnMajorES4_DF16_NS_7pk_i4_tEfDF16_DF16_NS_16tensor_operation12element_wise11PassThroughES9_S9_LNS7_6device18GemmSpecializationE0ELi256ELi1ELi128ELi128ELi128ELi64ELi8ELi16ELi16ELi16ELi8ELi2ENS_8SequenceIJLi8ELi32ELi1EEEENSC_IJLi1ELi0ELi2EEEESE_Li2ELi8ELi8ELb0ELi0ENSC_IJLi2ELi128ELi1EEEESE_SE_Li2ELi16ELi16ELb0ELi0ELi1ELi1ENSC_IJLi1ELi16ELi1ELi16EEEELi4ELNS_26BlockGemmPipelineSchedulerE0ELNS_24BlockGemmPipelineVersionE2EDF16_DF16_Lb0ELb1EEELb1ELNS_25InMemoryDataOperationEnumE1ELi2ELNS_10TailNumberE10EEEvNT_8ArgumentE
; %bb.0:
	s_endpgm
	.section	.rodata,"a",@progbits
	.p2align	6, 0x0
	.amdhsa_kernel _ZN2ck27kernel_gemm_xdl_cshuffle_v3INS_28GridwiseGemm_xdl_cshuffle_v3INS_13tensor_layout4gemm8RowMajorENS3_11ColumnMajorES4_DF16_NS_7pk_i4_tEfDF16_DF16_NS_16tensor_operation12element_wise11PassThroughES9_S9_LNS7_6device18GemmSpecializationE0ELi256ELi1ELi128ELi128ELi128ELi64ELi8ELi16ELi16ELi16ELi8ELi2ENS_8SequenceIJLi8ELi32ELi1EEEENSC_IJLi1ELi0ELi2EEEESE_Li2ELi8ELi8ELb0ELi0ENSC_IJLi2ELi128ELi1EEEESE_SE_Li2ELi16ELi16ELb0ELi0ELi1ELi1ENSC_IJLi1ELi16ELi1ELi16EEEELi4ELNS_26BlockGemmPipelineSchedulerE0ELNS_24BlockGemmPipelineVersionE2EDF16_DF16_Lb0ELb1EEELb1ELNS_25InMemoryDataOperationEnumE1ELi2ELNS_10TailNumberE10EEEvNT_8ArgumentE
		.amdhsa_group_segment_fixed_size 0
		.amdhsa_private_segment_fixed_size 0
		.amdhsa_kernarg_size 120
		.amdhsa_user_sgpr_count 15
		.amdhsa_user_sgpr_dispatch_ptr 0
		.amdhsa_user_sgpr_queue_ptr 0
		.amdhsa_user_sgpr_kernarg_segment_ptr 1
		.amdhsa_user_sgpr_dispatch_id 0
		.amdhsa_user_sgpr_private_segment_size 0
		.amdhsa_wavefront_size32 1
		.amdhsa_uses_dynamic_stack 0
		.amdhsa_enable_private_segment 0
		.amdhsa_system_sgpr_workgroup_id_x 1
		.amdhsa_system_sgpr_workgroup_id_y 0
		.amdhsa_system_sgpr_workgroup_id_z 0
		.amdhsa_system_sgpr_workgroup_info 0
		.amdhsa_system_vgpr_workitem_id 0
		.amdhsa_next_free_vgpr 1
		.amdhsa_next_free_sgpr 1
		.amdhsa_reserve_vcc 0
		.amdhsa_float_round_mode_32 0
		.amdhsa_float_round_mode_16_64 0
		.amdhsa_float_denorm_mode_32 3
		.amdhsa_float_denorm_mode_16_64 3
		.amdhsa_dx10_clamp 1
		.amdhsa_ieee_mode 1
		.amdhsa_fp16_overflow 0
		.amdhsa_workgroup_processor_mode 1
		.amdhsa_memory_ordered 1
		.amdhsa_forward_progress 0
		.amdhsa_shared_vgpr_count 0
		.amdhsa_exception_fp_ieee_invalid_op 0
		.amdhsa_exception_fp_denorm_src 0
		.amdhsa_exception_fp_ieee_div_zero 0
		.amdhsa_exception_fp_ieee_overflow 0
		.amdhsa_exception_fp_ieee_underflow 0
		.amdhsa_exception_fp_ieee_inexact 0
		.amdhsa_exception_int_div_zero 0
	.end_amdhsa_kernel
	.section	.text._ZN2ck27kernel_gemm_xdl_cshuffle_v3INS_28GridwiseGemm_xdl_cshuffle_v3INS_13tensor_layout4gemm8RowMajorENS3_11ColumnMajorES4_DF16_NS_7pk_i4_tEfDF16_DF16_NS_16tensor_operation12element_wise11PassThroughES9_S9_LNS7_6device18GemmSpecializationE0ELi256ELi1ELi128ELi128ELi128ELi64ELi8ELi16ELi16ELi16ELi8ELi2ENS_8SequenceIJLi8ELi32ELi1EEEENSC_IJLi1ELi0ELi2EEEESE_Li2ELi8ELi8ELb0ELi0ENSC_IJLi2ELi128ELi1EEEESE_SE_Li2ELi16ELi16ELb0ELi0ELi1ELi1ENSC_IJLi1ELi16ELi1ELi16EEEELi4ELNS_26BlockGemmPipelineSchedulerE0ELNS_24BlockGemmPipelineVersionE2EDF16_DF16_Lb0ELb1EEELb1ELNS_25InMemoryDataOperationEnumE1ELi2ELNS_10TailNumberE10EEEvNT_8ArgumentE,"axG",@progbits,_ZN2ck27kernel_gemm_xdl_cshuffle_v3INS_28GridwiseGemm_xdl_cshuffle_v3INS_13tensor_layout4gemm8RowMajorENS3_11ColumnMajorES4_DF16_NS_7pk_i4_tEfDF16_DF16_NS_16tensor_operation12element_wise11PassThroughES9_S9_LNS7_6device18GemmSpecializationE0ELi256ELi1ELi128ELi128ELi128ELi64ELi8ELi16ELi16ELi16ELi8ELi2ENS_8SequenceIJLi8ELi32ELi1EEEENSC_IJLi1ELi0ELi2EEEESE_Li2ELi8ELi8ELb0ELi0ENSC_IJLi2ELi128ELi1EEEESE_SE_Li2ELi16ELi16ELb0ELi0ELi1ELi1ENSC_IJLi1ELi16ELi1ELi16EEEELi4ELNS_26BlockGemmPipelineSchedulerE0ELNS_24BlockGemmPipelineVersionE2EDF16_DF16_Lb0ELb1EEELb1ELNS_25InMemoryDataOperationEnumE1ELi2ELNS_10TailNumberE10EEEvNT_8ArgumentE,comdat
.Lfunc_end1:
	.size	_ZN2ck27kernel_gemm_xdl_cshuffle_v3INS_28GridwiseGemm_xdl_cshuffle_v3INS_13tensor_layout4gemm8RowMajorENS3_11ColumnMajorES4_DF16_NS_7pk_i4_tEfDF16_DF16_NS_16tensor_operation12element_wise11PassThroughES9_S9_LNS7_6device18GemmSpecializationE0ELi256ELi1ELi128ELi128ELi128ELi64ELi8ELi16ELi16ELi16ELi8ELi2ENS_8SequenceIJLi8ELi32ELi1EEEENSC_IJLi1ELi0ELi2EEEESE_Li2ELi8ELi8ELb0ELi0ENSC_IJLi2ELi128ELi1EEEESE_SE_Li2ELi16ELi16ELb0ELi0ELi1ELi1ENSC_IJLi1ELi16ELi1ELi16EEEELi4ELNS_26BlockGemmPipelineSchedulerE0ELNS_24BlockGemmPipelineVersionE2EDF16_DF16_Lb0ELb1EEELb1ELNS_25InMemoryDataOperationEnumE1ELi2ELNS_10TailNumberE10EEEvNT_8ArgumentE, .Lfunc_end1-_ZN2ck27kernel_gemm_xdl_cshuffle_v3INS_28GridwiseGemm_xdl_cshuffle_v3INS_13tensor_layout4gemm8RowMajorENS3_11ColumnMajorES4_DF16_NS_7pk_i4_tEfDF16_DF16_NS_16tensor_operation12element_wise11PassThroughES9_S9_LNS7_6device18GemmSpecializationE0ELi256ELi1ELi128ELi128ELi128ELi64ELi8ELi16ELi16ELi16ELi8ELi2ENS_8SequenceIJLi8ELi32ELi1EEEENSC_IJLi1ELi0ELi2EEEESE_Li2ELi8ELi8ELb0ELi0ENSC_IJLi2ELi128ELi1EEEESE_SE_Li2ELi16ELi16ELb0ELi0ELi1ELi1ENSC_IJLi1ELi16ELi1ELi16EEEELi4ELNS_26BlockGemmPipelineSchedulerE0ELNS_24BlockGemmPipelineVersionE2EDF16_DF16_Lb0ELb1EEELb1ELNS_25InMemoryDataOperationEnumE1ELi2ELNS_10TailNumberE10EEEvNT_8ArgumentE
                                        ; -- End function
	.section	.AMDGPU.csdata,"",@progbits
; Kernel info:
; codeLenInByte = 4
; NumSgprs: 0
; NumVgprs: 0
; ScratchSize: 0
; MemoryBound: 0
; FloatMode: 240
; IeeeMode: 1
; LDSByteSize: 0 bytes/workgroup (compile time only)
; SGPRBlocks: 0
; VGPRBlocks: 0
; NumSGPRsForWavesPerEU: 1
; NumVGPRsForWavesPerEU: 1
; Occupancy: 16
; WaveLimiterHint : 0
; COMPUTE_PGM_RSRC2:SCRATCH_EN: 0
; COMPUTE_PGM_RSRC2:USER_SGPR: 15
; COMPUTE_PGM_RSRC2:TRAP_HANDLER: 0
; COMPUTE_PGM_RSRC2:TGID_X_EN: 1
; COMPUTE_PGM_RSRC2:TGID_Y_EN: 0
; COMPUTE_PGM_RSRC2:TGID_Z_EN: 0
; COMPUTE_PGM_RSRC2:TIDIG_COMP_CNT: 0
	.section	.text._ZN2ck27kernel_gemm_xdl_cshuffle_v3INS_28GridwiseGemm_xdl_cshuffle_v3INS_13tensor_layout4gemm8RowMajorENS3_11ColumnMajorES4_DF16_NS_7pk_i4_tEfDF16_DF16_NS_16tensor_operation12element_wise11PassThroughES9_S9_LNS7_6device18GemmSpecializationE0ELi256ELi1ELi128ELi128ELi128ELi64ELi8ELi16ELi16ELi16ELi8ELi2ENS_8SequenceIJLi8ELi32ELi1EEEENSC_IJLi1ELi0ELi2EEEESE_Li2ELi8ELi8ELb0ELi0ENSC_IJLi2ELi128ELi1EEEESE_SE_Li2ELi16ELi16ELb0ELi0ELi1ELi1ENSC_IJLi1ELi16ELi1ELi16EEEELi4ELNS_26BlockGemmPipelineSchedulerE0ELNS_24BlockGemmPipelineVersionE2EDF16_DF16_Lb0ELb1EEELb1ELNS_25InMemoryDataOperationEnumE0ELi2ELNS_10TailNumberE10EEEvNT_8ArgumentE,"axG",@progbits,_ZN2ck27kernel_gemm_xdl_cshuffle_v3INS_28GridwiseGemm_xdl_cshuffle_v3INS_13tensor_layout4gemm8RowMajorENS3_11ColumnMajorES4_DF16_NS_7pk_i4_tEfDF16_DF16_NS_16tensor_operation12element_wise11PassThroughES9_S9_LNS7_6device18GemmSpecializationE0ELi256ELi1ELi128ELi128ELi128ELi64ELi8ELi16ELi16ELi16ELi8ELi2ENS_8SequenceIJLi8ELi32ELi1EEEENSC_IJLi1ELi0ELi2EEEESE_Li2ELi8ELi8ELb0ELi0ENSC_IJLi2ELi128ELi1EEEESE_SE_Li2ELi16ELi16ELb0ELi0ELi1ELi1ENSC_IJLi1ELi16ELi1ELi16EEEELi4ELNS_26BlockGemmPipelineSchedulerE0ELNS_24BlockGemmPipelineVersionE2EDF16_DF16_Lb0ELb1EEELb1ELNS_25InMemoryDataOperationEnumE0ELi2ELNS_10TailNumberE10EEEvNT_8ArgumentE,comdat
	.protected	_ZN2ck27kernel_gemm_xdl_cshuffle_v3INS_28GridwiseGemm_xdl_cshuffle_v3INS_13tensor_layout4gemm8RowMajorENS3_11ColumnMajorES4_DF16_NS_7pk_i4_tEfDF16_DF16_NS_16tensor_operation12element_wise11PassThroughES9_S9_LNS7_6device18GemmSpecializationE0ELi256ELi1ELi128ELi128ELi128ELi64ELi8ELi16ELi16ELi16ELi8ELi2ENS_8SequenceIJLi8ELi32ELi1EEEENSC_IJLi1ELi0ELi2EEEESE_Li2ELi8ELi8ELb0ELi0ENSC_IJLi2ELi128ELi1EEEESE_SE_Li2ELi16ELi16ELb0ELi0ELi1ELi1ENSC_IJLi1ELi16ELi1ELi16EEEELi4ELNS_26BlockGemmPipelineSchedulerE0ELNS_24BlockGemmPipelineVersionE2EDF16_DF16_Lb0ELb1EEELb1ELNS_25InMemoryDataOperationEnumE0ELi2ELNS_10TailNumberE10EEEvNT_8ArgumentE ; -- Begin function _ZN2ck27kernel_gemm_xdl_cshuffle_v3INS_28GridwiseGemm_xdl_cshuffle_v3INS_13tensor_layout4gemm8RowMajorENS3_11ColumnMajorES4_DF16_NS_7pk_i4_tEfDF16_DF16_NS_16tensor_operation12element_wise11PassThroughES9_S9_LNS7_6device18GemmSpecializationE0ELi256ELi1ELi128ELi128ELi128ELi64ELi8ELi16ELi16ELi16ELi8ELi2ENS_8SequenceIJLi8ELi32ELi1EEEENSC_IJLi1ELi0ELi2EEEESE_Li2ELi8ELi8ELb0ELi0ENSC_IJLi2ELi128ELi1EEEESE_SE_Li2ELi16ELi16ELb0ELi0ELi1ELi1ENSC_IJLi1ELi16ELi1ELi16EEEELi4ELNS_26BlockGemmPipelineSchedulerE0ELNS_24BlockGemmPipelineVersionE2EDF16_DF16_Lb0ELb1EEELb1ELNS_25InMemoryDataOperationEnumE0ELi2ELNS_10TailNumberE10EEEvNT_8ArgumentE
	.globl	_ZN2ck27kernel_gemm_xdl_cshuffle_v3INS_28GridwiseGemm_xdl_cshuffle_v3INS_13tensor_layout4gemm8RowMajorENS3_11ColumnMajorES4_DF16_NS_7pk_i4_tEfDF16_DF16_NS_16tensor_operation12element_wise11PassThroughES9_S9_LNS7_6device18GemmSpecializationE0ELi256ELi1ELi128ELi128ELi128ELi64ELi8ELi16ELi16ELi16ELi8ELi2ENS_8SequenceIJLi8ELi32ELi1EEEENSC_IJLi1ELi0ELi2EEEESE_Li2ELi8ELi8ELb0ELi0ENSC_IJLi2ELi128ELi1EEEESE_SE_Li2ELi16ELi16ELb0ELi0ELi1ELi1ENSC_IJLi1ELi16ELi1ELi16EEEELi4ELNS_26BlockGemmPipelineSchedulerE0ELNS_24BlockGemmPipelineVersionE2EDF16_DF16_Lb0ELb1EEELb1ELNS_25InMemoryDataOperationEnumE0ELi2ELNS_10TailNumberE10EEEvNT_8ArgumentE
	.p2align	8
	.type	_ZN2ck27kernel_gemm_xdl_cshuffle_v3INS_28GridwiseGemm_xdl_cshuffle_v3INS_13tensor_layout4gemm8RowMajorENS3_11ColumnMajorES4_DF16_NS_7pk_i4_tEfDF16_DF16_NS_16tensor_operation12element_wise11PassThroughES9_S9_LNS7_6device18GemmSpecializationE0ELi256ELi1ELi128ELi128ELi128ELi64ELi8ELi16ELi16ELi16ELi8ELi2ENS_8SequenceIJLi8ELi32ELi1EEEENSC_IJLi1ELi0ELi2EEEESE_Li2ELi8ELi8ELb0ELi0ENSC_IJLi2ELi128ELi1EEEESE_SE_Li2ELi16ELi16ELb0ELi0ELi1ELi1ENSC_IJLi1ELi16ELi1ELi16EEEELi4ELNS_26BlockGemmPipelineSchedulerE0ELNS_24BlockGemmPipelineVersionE2EDF16_DF16_Lb0ELb1EEELb1ELNS_25InMemoryDataOperationEnumE0ELi2ELNS_10TailNumberE10EEEvNT_8ArgumentE,@function
_ZN2ck27kernel_gemm_xdl_cshuffle_v3INS_28GridwiseGemm_xdl_cshuffle_v3INS_13tensor_layout4gemm8RowMajorENS3_11ColumnMajorES4_DF16_NS_7pk_i4_tEfDF16_DF16_NS_16tensor_operation12element_wise11PassThroughES9_S9_LNS7_6device18GemmSpecializationE0ELi256ELi1ELi128ELi128ELi128ELi64ELi8ELi16ELi16ELi16ELi8ELi2ENS_8SequenceIJLi8ELi32ELi1EEEENSC_IJLi1ELi0ELi2EEEESE_Li2ELi8ELi8ELb0ELi0ENSC_IJLi2ELi128ELi1EEEESE_SE_Li2ELi16ELi16ELb0ELi0ELi1ELi1ENSC_IJLi1ELi16ELi1ELi16EEEELi4ELNS_26BlockGemmPipelineSchedulerE0ELNS_24BlockGemmPipelineVersionE2EDF16_DF16_Lb0ELb1EEELb1ELNS_25InMemoryDataOperationEnumE0ELi2ELNS_10TailNumberE10EEEvNT_8ArgumentE: ; @_ZN2ck27kernel_gemm_xdl_cshuffle_v3INS_28GridwiseGemm_xdl_cshuffle_v3INS_13tensor_layout4gemm8RowMajorENS3_11ColumnMajorES4_DF16_NS_7pk_i4_tEfDF16_DF16_NS_16tensor_operation12element_wise11PassThroughES9_S9_LNS7_6device18GemmSpecializationE0ELi256ELi1ELi128ELi128ELi128ELi64ELi8ELi16ELi16ELi16ELi8ELi2ENS_8SequenceIJLi8ELi32ELi1EEEENSC_IJLi1ELi0ELi2EEEESE_Li2ELi8ELi8ELb0ELi0ENSC_IJLi2ELi128ELi1EEEESE_SE_Li2ELi16ELi16ELb0ELi0ELi1ELi1ENSC_IJLi1ELi16ELi1ELi16EEEELi4ELNS_26BlockGemmPipelineSchedulerE0ELNS_24BlockGemmPipelineVersionE2EDF16_DF16_Lb0ELb1EEELb1ELNS_25InMemoryDataOperationEnumE0ELi2ELNS_10TailNumberE10EEEvNT_8ArgumentE
; %bb.0:
	s_endpgm
	.section	.rodata,"a",@progbits
	.p2align	6, 0x0
	.amdhsa_kernel _ZN2ck27kernel_gemm_xdl_cshuffle_v3INS_28GridwiseGemm_xdl_cshuffle_v3INS_13tensor_layout4gemm8RowMajorENS3_11ColumnMajorES4_DF16_NS_7pk_i4_tEfDF16_DF16_NS_16tensor_operation12element_wise11PassThroughES9_S9_LNS7_6device18GemmSpecializationE0ELi256ELi1ELi128ELi128ELi128ELi64ELi8ELi16ELi16ELi16ELi8ELi2ENS_8SequenceIJLi8ELi32ELi1EEEENSC_IJLi1ELi0ELi2EEEESE_Li2ELi8ELi8ELb0ELi0ENSC_IJLi2ELi128ELi1EEEESE_SE_Li2ELi16ELi16ELb0ELi0ELi1ELi1ENSC_IJLi1ELi16ELi1ELi16EEEELi4ELNS_26BlockGemmPipelineSchedulerE0ELNS_24BlockGemmPipelineVersionE2EDF16_DF16_Lb0ELb1EEELb1ELNS_25InMemoryDataOperationEnumE0ELi2ELNS_10TailNumberE10EEEvNT_8ArgumentE
		.amdhsa_group_segment_fixed_size 0
		.amdhsa_private_segment_fixed_size 0
		.amdhsa_kernarg_size 120
		.amdhsa_user_sgpr_count 15
		.amdhsa_user_sgpr_dispatch_ptr 0
		.amdhsa_user_sgpr_queue_ptr 0
		.amdhsa_user_sgpr_kernarg_segment_ptr 1
		.amdhsa_user_sgpr_dispatch_id 0
		.amdhsa_user_sgpr_private_segment_size 0
		.amdhsa_wavefront_size32 1
		.amdhsa_uses_dynamic_stack 0
		.amdhsa_enable_private_segment 0
		.amdhsa_system_sgpr_workgroup_id_x 1
		.amdhsa_system_sgpr_workgroup_id_y 0
		.amdhsa_system_sgpr_workgroup_id_z 0
		.amdhsa_system_sgpr_workgroup_info 0
		.amdhsa_system_vgpr_workitem_id 0
		.amdhsa_next_free_vgpr 1
		.amdhsa_next_free_sgpr 1
		.amdhsa_reserve_vcc 0
		.amdhsa_float_round_mode_32 0
		.amdhsa_float_round_mode_16_64 0
		.amdhsa_float_denorm_mode_32 3
		.amdhsa_float_denorm_mode_16_64 3
		.amdhsa_dx10_clamp 1
		.amdhsa_ieee_mode 1
		.amdhsa_fp16_overflow 0
		.amdhsa_workgroup_processor_mode 1
		.amdhsa_memory_ordered 1
		.amdhsa_forward_progress 0
		.amdhsa_shared_vgpr_count 0
		.amdhsa_exception_fp_ieee_invalid_op 0
		.amdhsa_exception_fp_denorm_src 0
		.amdhsa_exception_fp_ieee_div_zero 0
		.amdhsa_exception_fp_ieee_overflow 0
		.amdhsa_exception_fp_ieee_underflow 0
		.amdhsa_exception_fp_ieee_inexact 0
		.amdhsa_exception_int_div_zero 0
	.end_amdhsa_kernel
	.section	.text._ZN2ck27kernel_gemm_xdl_cshuffle_v3INS_28GridwiseGemm_xdl_cshuffle_v3INS_13tensor_layout4gemm8RowMajorENS3_11ColumnMajorES4_DF16_NS_7pk_i4_tEfDF16_DF16_NS_16tensor_operation12element_wise11PassThroughES9_S9_LNS7_6device18GemmSpecializationE0ELi256ELi1ELi128ELi128ELi128ELi64ELi8ELi16ELi16ELi16ELi8ELi2ENS_8SequenceIJLi8ELi32ELi1EEEENSC_IJLi1ELi0ELi2EEEESE_Li2ELi8ELi8ELb0ELi0ENSC_IJLi2ELi128ELi1EEEESE_SE_Li2ELi16ELi16ELb0ELi0ELi1ELi1ENSC_IJLi1ELi16ELi1ELi16EEEELi4ELNS_26BlockGemmPipelineSchedulerE0ELNS_24BlockGemmPipelineVersionE2EDF16_DF16_Lb0ELb1EEELb1ELNS_25InMemoryDataOperationEnumE0ELi2ELNS_10TailNumberE10EEEvNT_8ArgumentE,"axG",@progbits,_ZN2ck27kernel_gemm_xdl_cshuffle_v3INS_28GridwiseGemm_xdl_cshuffle_v3INS_13tensor_layout4gemm8RowMajorENS3_11ColumnMajorES4_DF16_NS_7pk_i4_tEfDF16_DF16_NS_16tensor_operation12element_wise11PassThroughES9_S9_LNS7_6device18GemmSpecializationE0ELi256ELi1ELi128ELi128ELi128ELi64ELi8ELi16ELi16ELi16ELi8ELi2ENS_8SequenceIJLi8ELi32ELi1EEEENSC_IJLi1ELi0ELi2EEEESE_Li2ELi8ELi8ELb0ELi0ENSC_IJLi2ELi128ELi1EEEESE_SE_Li2ELi16ELi16ELb0ELi0ELi1ELi1ENSC_IJLi1ELi16ELi1ELi16EEEELi4ELNS_26BlockGemmPipelineSchedulerE0ELNS_24BlockGemmPipelineVersionE2EDF16_DF16_Lb0ELb1EEELb1ELNS_25InMemoryDataOperationEnumE0ELi2ELNS_10TailNumberE10EEEvNT_8ArgumentE,comdat
.Lfunc_end2:
	.size	_ZN2ck27kernel_gemm_xdl_cshuffle_v3INS_28GridwiseGemm_xdl_cshuffle_v3INS_13tensor_layout4gemm8RowMajorENS3_11ColumnMajorES4_DF16_NS_7pk_i4_tEfDF16_DF16_NS_16tensor_operation12element_wise11PassThroughES9_S9_LNS7_6device18GemmSpecializationE0ELi256ELi1ELi128ELi128ELi128ELi64ELi8ELi16ELi16ELi16ELi8ELi2ENS_8SequenceIJLi8ELi32ELi1EEEENSC_IJLi1ELi0ELi2EEEESE_Li2ELi8ELi8ELb0ELi0ENSC_IJLi2ELi128ELi1EEEESE_SE_Li2ELi16ELi16ELb0ELi0ELi1ELi1ENSC_IJLi1ELi16ELi1ELi16EEEELi4ELNS_26BlockGemmPipelineSchedulerE0ELNS_24BlockGemmPipelineVersionE2EDF16_DF16_Lb0ELb1EEELb1ELNS_25InMemoryDataOperationEnumE0ELi2ELNS_10TailNumberE10EEEvNT_8ArgumentE, .Lfunc_end2-_ZN2ck27kernel_gemm_xdl_cshuffle_v3INS_28GridwiseGemm_xdl_cshuffle_v3INS_13tensor_layout4gemm8RowMajorENS3_11ColumnMajorES4_DF16_NS_7pk_i4_tEfDF16_DF16_NS_16tensor_operation12element_wise11PassThroughES9_S9_LNS7_6device18GemmSpecializationE0ELi256ELi1ELi128ELi128ELi128ELi64ELi8ELi16ELi16ELi16ELi8ELi2ENS_8SequenceIJLi8ELi32ELi1EEEENSC_IJLi1ELi0ELi2EEEESE_Li2ELi8ELi8ELb0ELi0ENSC_IJLi2ELi128ELi1EEEESE_SE_Li2ELi16ELi16ELb0ELi0ELi1ELi1ENSC_IJLi1ELi16ELi1ELi16EEEELi4ELNS_26BlockGemmPipelineSchedulerE0ELNS_24BlockGemmPipelineVersionE2EDF16_DF16_Lb0ELb1EEELb1ELNS_25InMemoryDataOperationEnumE0ELi2ELNS_10TailNumberE10EEEvNT_8ArgumentE
                                        ; -- End function
	.section	.AMDGPU.csdata,"",@progbits
; Kernel info:
; codeLenInByte = 4
; NumSgprs: 0
; NumVgprs: 0
; ScratchSize: 0
; MemoryBound: 0
; FloatMode: 240
; IeeeMode: 1
; LDSByteSize: 0 bytes/workgroup (compile time only)
; SGPRBlocks: 0
; VGPRBlocks: 0
; NumSGPRsForWavesPerEU: 1
; NumVGPRsForWavesPerEU: 1
; Occupancy: 16
; WaveLimiterHint : 0
; COMPUTE_PGM_RSRC2:SCRATCH_EN: 0
; COMPUTE_PGM_RSRC2:USER_SGPR: 15
; COMPUTE_PGM_RSRC2:TRAP_HANDLER: 0
; COMPUTE_PGM_RSRC2:TGID_X_EN: 1
; COMPUTE_PGM_RSRC2:TGID_Y_EN: 0
; COMPUTE_PGM_RSRC2:TGID_Z_EN: 0
; COMPUTE_PGM_RSRC2:TIDIG_COMP_CNT: 0
	.section	.text._ZN2ck27kernel_gemm_xdl_cshuffle_v3INS_28GridwiseGemm_xdl_cshuffle_v3INS_13tensor_layout4gemm8RowMajorENS3_11ColumnMajorES4_DF16_NS_7pk_i4_tEfDF16_DF16_NS_16tensor_operation12element_wise11PassThroughES9_S9_LNS7_6device18GemmSpecializationE0ELi256ELi1ELi128ELi128ELi128ELi64ELi8ELi16ELi16ELi16ELi8ELi1ENS_8SequenceIJLi8ELi32ELi1EEEENSC_IJLi1ELi0ELi2EEEESE_Li2ELi8ELi8ELb0ELi0ENSC_IJLi2ELi128ELi1EEEESE_SE_Li2ELi16ELi16ELb0ELi0ELi1ELi1ENSC_IJLi1ELi16ELi1ELi16EEEELi4ELNS_26BlockGemmPipelineSchedulerE0ELNS_24BlockGemmPipelineVersionE2EDF16_DF16_Lb0ELb1EEELb1ELNS_25InMemoryDataOperationEnumE1ELi2ELNS_10TailNumberE10EEEvNT_8ArgumentE,"axG",@progbits,_ZN2ck27kernel_gemm_xdl_cshuffle_v3INS_28GridwiseGemm_xdl_cshuffle_v3INS_13tensor_layout4gemm8RowMajorENS3_11ColumnMajorES4_DF16_NS_7pk_i4_tEfDF16_DF16_NS_16tensor_operation12element_wise11PassThroughES9_S9_LNS7_6device18GemmSpecializationE0ELi256ELi1ELi128ELi128ELi128ELi64ELi8ELi16ELi16ELi16ELi8ELi1ENS_8SequenceIJLi8ELi32ELi1EEEENSC_IJLi1ELi0ELi2EEEESE_Li2ELi8ELi8ELb0ELi0ENSC_IJLi2ELi128ELi1EEEESE_SE_Li2ELi16ELi16ELb0ELi0ELi1ELi1ENSC_IJLi1ELi16ELi1ELi16EEEELi4ELNS_26BlockGemmPipelineSchedulerE0ELNS_24BlockGemmPipelineVersionE2EDF16_DF16_Lb0ELb1EEELb1ELNS_25InMemoryDataOperationEnumE1ELi2ELNS_10TailNumberE10EEEvNT_8ArgumentE,comdat
	.protected	_ZN2ck27kernel_gemm_xdl_cshuffle_v3INS_28GridwiseGemm_xdl_cshuffle_v3INS_13tensor_layout4gemm8RowMajorENS3_11ColumnMajorES4_DF16_NS_7pk_i4_tEfDF16_DF16_NS_16tensor_operation12element_wise11PassThroughES9_S9_LNS7_6device18GemmSpecializationE0ELi256ELi1ELi128ELi128ELi128ELi64ELi8ELi16ELi16ELi16ELi8ELi1ENS_8SequenceIJLi8ELi32ELi1EEEENSC_IJLi1ELi0ELi2EEEESE_Li2ELi8ELi8ELb0ELi0ENSC_IJLi2ELi128ELi1EEEESE_SE_Li2ELi16ELi16ELb0ELi0ELi1ELi1ENSC_IJLi1ELi16ELi1ELi16EEEELi4ELNS_26BlockGemmPipelineSchedulerE0ELNS_24BlockGemmPipelineVersionE2EDF16_DF16_Lb0ELb1EEELb1ELNS_25InMemoryDataOperationEnumE1ELi2ELNS_10TailNumberE10EEEvNT_8ArgumentE ; -- Begin function _ZN2ck27kernel_gemm_xdl_cshuffle_v3INS_28GridwiseGemm_xdl_cshuffle_v3INS_13tensor_layout4gemm8RowMajorENS3_11ColumnMajorES4_DF16_NS_7pk_i4_tEfDF16_DF16_NS_16tensor_operation12element_wise11PassThroughES9_S9_LNS7_6device18GemmSpecializationE0ELi256ELi1ELi128ELi128ELi128ELi64ELi8ELi16ELi16ELi16ELi8ELi1ENS_8SequenceIJLi8ELi32ELi1EEEENSC_IJLi1ELi0ELi2EEEESE_Li2ELi8ELi8ELb0ELi0ENSC_IJLi2ELi128ELi1EEEESE_SE_Li2ELi16ELi16ELb0ELi0ELi1ELi1ENSC_IJLi1ELi16ELi1ELi16EEEELi4ELNS_26BlockGemmPipelineSchedulerE0ELNS_24BlockGemmPipelineVersionE2EDF16_DF16_Lb0ELb1EEELb1ELNS_25InMemoryDataOperationEnumE1ELi2ELNS_10TailNumberE10EEEvNT_8ArgumentE
	.globl	_ZN2ck27kernel_gemm_xdl_cshuffle_v3INS_28GridwiseGemm_xdl_cshuffle_v3INS_13tensor_layout4gemm8RowMajorENS3_11ColumnMajorES4_DF16_NS_7pk_i4_tEfDF16_DF16_NS_16tensor_operation12element_wise11PassThroughES9_S9_LNS7_6device18GemmSpecializationE0ELi256ELi1ELi128ELi128ELi128ELi64ELi8ELi16ELi16ELi16ELi8ELi1ENS_8SequenceIJLi8ELi32ELi1EEEENSC_IJLi1ELi0ELi2EEEESE_Li2ELi8ELi8ELb0ELi0ENSC_IJLi2ELi128ELi1EEEESE_SE_Li2ELi16ELi16ELb0ELi0ELi1ELi1ENSC_IJLi1ELi16ELi1ELi16EEEELi4ELNS_26BlockGemmPipelineSchedulerE0ELNS_24BlockGemmPipelineVersionE2EDF16_DF16_Lb0ELb1EEELb1ELNS_25InMemoryDataOperationEnumE1ELi2ELNS_10TailNumberE10EEEvNT_8ArgumentE
	.p2align	8
	.type	_ZN2ck27kernel_gemm_xdl_cshuffle_v3INS_28GridwiseGemm_xdl_cshuffle_v3INS_13tensor_layout4gemm8RowMajorENS3_11ColumnMajorES4_DF16_NS_7pk_i4_tEfDF16_DF16_NS_16tensor_operation12element_wise11PassThroughES9_S9_LNS7_6device18GemmSpecializationE0ELi256ELi1ELi128ELi128ELi128ELi64ELi8ELi16ELi16ELi16ELi8ELi1ENS_8SequenceIJLi8ELi32ELi1EEEENSC_IJLi1ELi0ELi2EEEESE_Li2ELi8ELi8ELb0ELi0ENSC_IJLi2ELi128ELi1EEEESE_SE_Li2ELi16ELi16ELb0ELi0ELi1ELi1ENSC_IJLi1ELi16ELi1ELi16EEEELi4ELNS_26BlockGemmPipelineSchedulerE0ELNS_24BlockGemmPipelineVersionE2EDF16_DF16_Lb0ELb1EEELb1ELNS_25InMemoryDataOperationEnumE1ELi2ELNS_10TailNumberE10EEEvNT_8ArgumentE,@function
_ZN2ck27kernel_gemm_xdl_cshuffle_v3INS_28GridwiseGemm_xdl_cshuffle_v3INS_13tensor_layout4gemm8RowMajorENS3_11ColumnMajorES4_DF16_NS_7pk_i4_tEfDF16_DF16_NS_16tensor_operation12element_wise11PassThroughES9_S9_LNS7_6device18GemmSpecializationE0ELi256ELi1ELi128ELi128ELi128ELi64ELi8ELi16ELi16ELi16ELi8ELi1ENS_8SequenceIJLi8ELi32ELi1EEEENSC_IJLi1ELi0ELi2EEEESE_Li2ELi8ELi8ELb0ELi0ENSC_IJLi2ELi128ELi1EEEESE_SE_Li2ELi16ELi16ELb0ELi0ELi1ELi1ENSC_IJLi1ELi16ELi1ELi16EEEELi4ELNS_26BlockGemmPipelineSchedulerE0ELNS_24BlockGemmPipelineVersionE2EDF16_DF16_Lb0ELb1EEELb1ELNS_25InMemoryDataOperationEnumE1ELi2ELNS_10TailNumberE10EEEvNT_8ArgumentE: ; @_ZN2ck27kernel_gemm_xdl_cshuffle_v3INS_28GridwiseGemm_xdl_cshuffle_v3INS_13tensor_layout4gemm8RowMajorENS3_11ColumnMajorES4_DF16_NS_7pk_i4_tEfDF16_DF16_NS_16tensor_operation12element_wise11PassThroughES9_S9_LNS7_6device18GemmSpecializationE0ELi256ELi1ELi128ELi128ELi128ELi64ELi8ELi16ELi16ELi16ELi8ELi1ENS_8SequenceIJLi8ELi32ELi1EEEENSC_IJLi1ELi0ELi2EEEESE_Li2ELi8ELi8ELb0ELi0ENSC_IJLi2ELi128ELi1EEEESE_SE_Li2ELi16ELi16ELb0ELi0ELi1ELi1ENSC_IJLi1ELi16ELi1ELi16EEEELi4ELNS_26BlockGemmPipelineSchedulerE0ELNS_24BlockGemmPipelineVersionE2EDF16_DF16_Lb0ELb1EEELb1ELNS_25InMemoryDataOperationEnumE1ELi2ELNS_10TailNumberE10EEEvNT_8ArgumentE
; %bb.0:
	s_endpgm
	.section	.rodata,"a",@progbits
	.p2align	6, 0x0
	.amdhsa_kernel _ZN2ck27kernel_gemm_xdl_cshuffle_v3INS_28GridwiseGemm_xdl_cshuffle_v3INS_13tensor_layout4gemm8RowMajorENS3_11ColumnMajorES4_DF16_NS_7pk_i4_tEfDF16_DF16_NS_16tensor_operation12element_wise11PassThroughES9_S9_LNS7_6device18GemmSpecializationE0ELi256ELi1ELi128ELi128ELi128ELi64ELi8ELi16ELi16ELi16ELi8ELi1ENS_8SequenceIJLi8ELi32ELi1EEEENSC_IJLi1ELi0ELi2EEEESE_Li2ELi8ELi8ELb0ELi0ENSC_IJLi2ELi128ELi1EEEESE_SE_Li2ELi16ELi16ELb0ELi0ELi1ELi1ENSC_IJLi1ELi16ELi1ELi16EEEELi4ELNS_26BlockGemmPipelineSchedulerE0ELNS_24BlockGemmPipelineVersionE2EDF16_DF16_Lb0ELb1EEELb1ELNS_25InMemoryDataOperationEnumE1ELi2ELNS_10TailNumberE10EEEvNT_8ArgumentE
		.amdhsa_group_segment_fixed_size 0
		.amdhsa_private_segment_fixed_size 0
		.amdhsa_kernarg_size 120
		.amdhsa_user_sgpr_count 15
		.amdhsa_user_sgpr_dispatch_ptr 0
		.amdhsa_user_sgpr_queue_ptr 0
		.amdhsa_user_sgpr_kernarg_segment_ptr 1
		.amdhsa_user_sgpr_dispatch_id 0
		.amdhsa_user_sgpr_private_segment_size 0
		.amdhsa_wavefront_size32 1
		.amdhsa_uses_dynamic_stack 0
		.amdhsa_enable_private_segment 0
		.amdhsa_system_sgpr_workgroup_id_x 1
		.amdhsa_system_sgpr_workgroup_id_y 0
		.amdhsa_system_sgpr_workgroup_id_z 0
		.amdhsa_system_sgpr_workgroup_info 0
		.amdhsa_system_vgpr_workitem_id 0
		.amdhsa_next_free_vgpr 1
		.amdhsa_next_free_sgpr 1
		.amdhsa_reserve_vcc 0
		.amdhsa_float_round_mode_32 0
		.amdhsa_float_round_mode_16_64 0
		.amdhsa_float_denorm_mode_32 3
		.amdhsa_float_denorm_mode_16_64 3
		.amdhsa_dx10_clamp 1
		.amdhsa_ieee_mode 1
		.amdhsa_fp16_overflow 0
		.amdhsa_workgroup_processor_mode 1
		.amdhsa_memory_ordered 1
		.amdhsa_forward_progress 0
		.amdhsa_shared_vgpr_count 0
		.amdhsa_exception_fp_ieee_invalid_op 0
		.amdhsa_exception_fp_denorm_src 0
		.amdhsa_exception_fp_ieee_div_zero 0
		.amdhsa_exception_fp_ieee_overflow 0
		.amdhsa_exception_fp_ieee_underflow 0
		.amdhsa_exception_fp_ieee_inexact 0
		.amdhsa_exception_int_div_zero 0
	.end_amdhsa_kernel
	.section	.text._ZN2ck27kernel_gemm_xdl_cshuffle_v3INS_28GridwiseGemm_xdl_cshuffle_v3INS_13tensor_layout4gemm8RowMajorENS3_11ColumnMajorES4_DF16_NS_7pk_i4_tEfDF16_DF16_NS_16tensor_operation12element_wise11PassThroughES9_S9_LNS7_6device18GemmSpecializationE0ELi256ELi1ELi128ELi128ELi128ELi64ELi8ELi16ELi16ELi16ELi8ELi1ENS_8SequenceIJLi8ELi32ELi1EEEENSC_IJLi1ELi0ELi2EEEESE_Li2ELi8ELi8ELb0ELi0ENSC_IJLi2ELi128ELi1EEEESE_SE_Li2ELi16ELi16ELb0ELi0ELi1ELi1ENSC_IJLi1ELi16ELi1ELi16EEEELi4ELNS_26BlockGemmPipelineSchedulerE0ELNS_24BlockGemmPipelineVersionE2EDF16_DF16_Lb0ELb1EEELb1ELNS_25InMemoryDataOperationEnumE1ELi2ELNS_10TailNumberE10EEEvNT_8ArgumentE,"axG",@progbits,_ZN2ck27kernel_gemm_xdl_cshuffle_v3INS_28GridwiseGemm_xdl_cshuffle_v3INS_13tensor_layout4gemm8RowMajorENS3_11ColumnMajorES4_DF16_NS_7pk_i4_tEfDF16_DF16_NS_16tensor_operation12element_wise11PassThroughES9_S9_LNS7_6device18GemmSpecializationE0ELi256ELi1ELi128ELi128ELi128ELi64ELi8ELi16ELi16ELi16ELi8ELi1ENS_8SequenceIJLi8ELi32ELi1EEEENSC_IJLi1ELi0ELi2EEEESE_Li2ELi8ELi8ELb0ELi0ENSC_IJLi2ELi128ELi1EEEESE_SE_Li2ELi16ELi16ELb0ELi0ELi1ELi1ENSC_IJLi1ELi16ELi1ELi16EEEELi4ELNS_26BlockGemmPipelineSchedulerE0ELNS_24BlockGemmPipelineVersionE2EDF16_DF16_Lb0ELb1EEELb1ELNS_25InMemoryDataOperationEnumE1ELi2ELNS_10TailNumberE10EEEvNT_8ArgumentE,comdat
.Lfunc_end3:
	.size	_ZN2ck27kernel_gemm_xdl_cshuffle_v3INS_28GridwiseGemm_xdl_cshuffle_v3INS_13tensor_layout4gemm8RowMajorENS3_11ColumnMajorES4_DF16_NS_7pk_i4_tEfDF16_DF16_NS_16tensor_operation12element_wise11PassThroughES9_S9_LNS7_6device18GemmSpecializationE0ELi256ELi1ELi128ELi128ELi128ELi64ELi8ELi16ELi16ELi16ELi8ELi1ENS_8SequenceIJLi8ELi32ELi1EEEENSC_IJLi1ELi0ELi2EEEESE_Li2ELi8ELi8ELb0ELi0ENSC_IJLi2ELi128ELi1EEEESE_SE_Li2ELi16ELi16ELb0ELi0ELi1ELi1ENSC_IJLi1ELi16ELi1ELi16EEEELi4ELNS_26BlockGemmPipelineSchedulerE0ELNS_24BlockGemmPipelineVersionE2EDF16_DF16_Lb0ELb1EEELb1ELNS_25InMemoryDataOperationEnumE1ELi2ELNS_10TailNumberE10EEEvNT_8ArgumentE, .Lfunc_end3-_ZN2ck27kernel_gemm_xdl_cshuffle_v3INS_28GridwiseGemm_xdl_cshuffle_v3INS_13tensor_layout4gemm8RowMajorENS3_11ColumnMajorES4_DF16_NS_7pk_i4_tEfDF16_DF16_NS_16tensor_operation12element_wise11PassThroughES9_S9_LNS7_6device18GemmSpecializationE0ELi256ELi1ELi128ELi128ELi128ELi64ELi8ELi16ELi16ELi16ELi8ELi1ENS_8SequenceIJLi8ELi32ELi1EEEENSC_IJLi1ELi0ELi2EEEESE_Li2ELi8ELi8ELb0ELi0ENSC_IJLi2ELi128ELi1EEEESE_SE_Li2ELi16ELi16ELb0ELi0ELi1ELi1ENSC_IJLi1ELi16ELi1ELi16EEEELi4ELNS_26BlockGemmPipelineSchedulerE0ELNS_24BlockGemmPipelineVersionE2EDF16_DF16_Lb0ELb1EEELb1ELNS_25InMemoryDataOperationEnumE1ELi2ELNS_10TailNumberE10EEEvNT_8ArgumentE
                                        ; -- End function
	.section	.AMDGPU.csdata,"",@progbits
; Kernel info:
; codeLenInByte = 4
; NumSgprs: 0
; NumVgprs: 0
; ScratchSize: 0
; MemoryBound: 0
; FloatMode: 240
; IeeeMode: 1
; LDSByteSize: 0 bytes/workgroup (compile time only)
; SGPRBlocks: 0
; VGPRBlocks: 0
; NumSGPRsForWavesPerEU: 1
; NumVGPRsForWavesPerEU: 1
; Occupancy: 16
; WaveLimiterHint : 0
; COMPUTE_PGM_RSRC2:SCRATCH_EN: 0
; COMPUTE_PGM_RSRC2:USER_SGPR: 15
; COMPUTE_PGM_RSRC2:TRAP_HANDLER: 0
; COMPUTE_PGM_RSRC2:TGID_X_EN: 1
; COMPUTE_PGM_RSRC2:TGID_Y_EN: 0
; COMPUTE_PGM_RSRC2:TGID_Z_EN: 0
; COMPUTE_PGM_RSRC2:TIDIG_COMP_CNT: 0
	.section	.text._ZN2ck27kernel_gemm_xdl_cshuffle_v3INS_28GridwiseGemm_xdl_cshuffle_v3INS_13tensor_layout4gemm8RowMajorENS3_11ColumnMajorES4_DF16_NS_7pk_i4_tEfDF16_DF16_NS_16tensor_operation12element_wise11PassThroughES9_S9_LNS7_6device18GemmSpecializationE0ELi256ELi1ELi128ELi128ELi128ELi64ELi8ELi16ELi16ELi16ELi8ELi1ENS_8SequenceIJLi8ELi32ELi1EEEENSC_IJLi1ELi0ELi2EEEESE_Li2ELi8ELi8ELb0ELi0ENSC_IJLi2ELi128ELi1EEEESE_SE_Li2ELi16ELi16ELb0ELi0ELi1ELi1ENSC_IJLi1ELi16ELi1ELi16EEEELi4ELNS_26BlockGemmPipelineSchedulerE0ELNS_24BlockGemmPipelineVersionE2EDF16_DF16_Lb0ELb1EEELb1ELNS_25InMemoryDataOperationEnumE0ELi2ELNS_10TailNumberE10EEEvNT_8ArgumentE,"axG",@progbits,_ZN2ck27kernel_gemm_xdl_cshuffle_v3INS_28GridwiseGemm_xdl_cshuffle_v3INS_13tensor_layout4gemm8RowMajorENS3_11ColumnMajorES4_DF16_NS_7pk_i4_tEfDF16_DF16_NS_16tensor_operation12element_wise11PassThroughES9_S9_LNS7_6device18GemmSpecializationE0ELi256ELi1ELi128ELi128ELi128ELi64ELi8ELi16ELi16ELi16ELi8ELi1ENS_8SequenceIJLi8ELi32ELi1EEEENSC_IJLi1ELi0ELi2EEEESE_Li2ELi8ELi8ELb0ELi0ENSC_IJLi2ELi128ELi1EEEESE_SE_Li2ELi16ELi16ELb0ELi0ELi1ELi1ENSC_IJLi1ELi16ELi1ELi16EEEELi4ELNS_26BlockGemmPipelineSchedulerE0ELNS_24BlockGemmPipelineVersionE2EDF16_DF16_Lb0ELb1EEELb1ELNS_25InMemoryDataOperationEnumE0ELi2ELNS_10TailNumberE10EEEvNT_8ArgumentE,comdat
	.protected	_ZN2ck27kernel_gemm_xdl_cshuffle_v3INS_28GridwiseGemm_xdl_cshuffle_v3INS_13tensor_layout4gemm8RowMajorENS3_11ColumnMajorES4_DF16_NS_7pk_i4_tEfDF16_DF16_NS_16tensor_operation12element_wise11PassThroughES9_S9_LNS7_6device18GemmSpecializationE0ELi256ELi1ELi128ELi128ELi128ELi64ELi8ELi16ELi16ELi16ELi8ELi1ENS_8SequenceIJLi8ELi32ELi1EEEENSC_IJLi1ELi0ELi2EEEESE_Li2ELi8ELi8ELb0ELi0ENSC_IJLi2ELi128ELi1EEEESE_SE_Li2ELi16ELi16ELb0ELi0ELi1ELi1ENSC_IJLi1ELi16ELi1ELi16EEEELi4ELNS_26BlockGemmPipelineSchedulerE0ELNS_24BlockGemmPipelineVersionE2EDF16_DF16_Lb0ELb1EEELb1ELNS_25InMemoryDataOperationEnumE0ELi2ELNS_10TailNumberE10EEEvNT_8ArgumentE ; -- Begin function _ZN2ck27kernel_gemm_xdl_cshuffle_v3INS_28GridwiseGemm_xdl_cshuffle_v3INS_13tensor_layout4gemm8RowMajorENS3_11ColumnMajorES4_DF16_NS_7pk_i4_tEfDF16_DF16_NS_16tensor_operation12element_wise11PassThroughES9_S9_LNS7_6device18GemmSpecializationE0ELi256ELi1ELi128ELi128ELi128ELi64ELi8ELi16ELi16ELi16ELi8ELi1ENS_8SequenceIJLi8ELi32ELi1EEEENSC_IJLi1ELi0ELi2EEEESE_Li2ELi8ELi8ELb0ELi0ENSC_IJLi2ELi128ELi1EEEESE_SE_Li2ELi16ELi16ELb0ELi0ELi1ELi1ENSC_IJLi1ELi16ELi1ELi16EEEELi4ELNS_26BlockGemmPipelineSchedulerE0ELNS_24BlockGemmPipelineVersionE2EDF16_DF16_Lb0ELb1EEELb1ELNS_25InMemoryDataOperationEnumE0ELi2ELNS_10TailNumberE10EEEvNT_8ArgumentE
	.globl	_ZN2ck27kernel_gemm_xdl_cshuffle_v3INS_28GridwiseGemm_xdl_cshuffle_v3INS_13tensor_layout4gemm8RowMajorENS3_11ColumnMajorES4_DF16_NS_7pk_i4_tEfDF16_DF16_NS_16tensor_operation12element_wise11PassThroughES9_S9_LNS7_6device18GemmSpecializationE0ELi256ELi1ELi128ELi128ELi128ELi64ELi8ELi16ELi16ELi16ELi8ELi1ENS_8SequenceIJLi8ELi32ELi1EEEENSC_IJLi1ELi0ELi2EEEESE_Li2ELi8ELi8ELb0ELi0ENSC_IJLi2ELi128ELi1EEEESE_SE_Li2ELi16ELi16ELb0ELi0ELi1ELi1ENSC_IJLi1ELi16ELi1ELi16EEEELi4ELNS_26BlockGemmPipelineSchedulerE0ELNS_24BlockGemmPipelineVersionE2EDF16_DF16_Lb0ELb1EEELb1ELNS_25InMemoryDataOperationEnumE0ELi2ELNS_10TailNumberE10EEEvNT_8ArgumentE
	.p2align	8
	.type	_ZN2ck27kernel_gemm_xdl_cshuffle_v3INS_28GridwiseGemm_xdl_cshuffle_v3INS_13tensor_layout4gemm8RowMajorENS3_11ColumnMajorES4_DF16_NS_7pk_i4_tEfDF16_DF16_NS_16tensor_operation12element_wise11PassThroughES9_S9_LNS7_6device18GemmSpecializationE0ELi256ELi1ELi128ELi128ELi128ELi64ELi8ELi16ELi16ELi16ELi8ELi1ENS_8SequenceIJLi8ELi32ELi1EEEENSC_IJLi1ELi0ELi2EEEESE_Li2ELi8ELi8ELb0ELi0ENSC_IJLi2ELi128ELi1EEEESE_SE_Li2ELi16ELi16ELb0ELi0ELi1ELi1ENSC_IJLi1ELi16ELi1ELi16EEEELi4ELNS_26BlockGemmPipelineSchedulerE0ELNS_24BlockGemmPipelineVersionE2EDF16_DF16_Lb0ELb1EEELb1ELNS_25InMemoryDataOperationEnumE0ELi2ELNS_10TailNumberE10EEEvNT_8ArgumentE,@function
_ZN2ck27kernel_gemm_xdl_cshuffle_v3INS_28GridwiseGemm_xdl_cshuffle_v3INS_13tensor_layout4gemm8RowMajorENS3_11ColumnMajorES4_DF16_NS_7pk_i4_tEfDF16_DF16_NS_16tensor_operation12element_wise11PassThroughES9_S9_LNS7_6device18GemmSpecializationE0ELi256ELi1ELi128ELi128ELi128ELi64ELi8ELi16ELi16ELi16ELi8ELi1ENS_8SequenceIJLi8ELi32ELi1EEEENSC_IJLi1ELi0ELi2EEEESE_Li2ELi8ELi8ELb0ELi0ENSC_IJLi2ELi128ELi1EEEESE_SE_Li2ELi16ELi16ELb0ELi0ELi1ELi1ENSC_IJLi1ELi16ELi1ELi16EEEELi4ELNS_26BlockGemmPipelineSchedulerE0ELNS_24BlockGemmPipelineVersionE2EDF16_DF16_Lb0ELb1EEELb1ELNS_25InMemoryDataOperationEnumE0ELi2ELNS_10TailNumberE10EEEvNT_8ArgumentE: ; @_ZN2ck27kernel_gemm_xdl_cshuffle_v3INS_28GridwiseGemm_xdl_cshuffle_v3INS_13tensor_layout4gemm8RowMajorENS3_11ColumnMajorES4_DF16_NS_7pk_i4_tEfDF16_DF16_NS_16tensor_operation12element_wise11PassThroughES9_S9_LNS7_6device18GemmSpecializationE0ELi256ELi1ELi128ELi128ELi128ELi64ELi8ELi16ELi16ELi16ELi8ELi1ENS_8SequenceIJLi8ELi32ELi1EEEENSC_IJLi1ELi0ELi2EEEESE_Li2ELi8ELi8ELb0ELi0ENSC_IJLi2ELi128ELi1EEEESE_SE_Li2ELi16ELi16ELb0ELi0ELi1ELi1ENSC_IJLi1ELi16ELi1ELi16EEEELi4ELNS_26BlockGemmPipelineSchedulerE0ELNS_24BlockGemmPipelineVersionE2EDF16_DF16_Lb0ELb1EEELb1ELNS_25InMemoryDataOperationEnumE0ELi2ELNS_10TailNumberE10EEEvNT_8ArgumentE
; %bb.0:
	s_clause 0x1
	s_load_b32 s2, s[0:1], 0x70
	s_load_b256 s[4:11], s[0:1], 0x10
	v_mov_b32_e32 v73, v0
	s_mov_b64 s[24:25], 0
	s_waitcnt lgkmcnt(0)
	s_lshr_b32 s2, s2, 24
	s_cmp_gt_i32 s11, 1
	s_cselect_b32 s3, -1, 0
	s_bitcmp1_b32 s2, 0
	s_cselect_b32 s2, -1, 0
	s_delay_alu instid0(SALU_CYCLE_1) | instskip(NEXT) | instid1(SALU_CYCLE_1)
	s_and_b32 s2, s3, s2
	s_and_not1_b32 vcc_lo, exec_lo, s2
	s_cbranch_vccnz .LBB4_2
; %bb.1:
	s_mul_i32 s2, s4, s15
	s_delay_alu instid0(SALU_CYCLE_1) | instskip(NEXT) | instid1(SALU_CYCLE_1)
	s_mul_i32 s24, s2, s5
	s_ashr_i32 s25, s24, 31
.LBB4_2:
	s_clause 0x2
	s_load_b32 s3, s[0:1], 0x38
	s_load_b32 s2, s[0:1], 0x40
	s_load_b256 s[16:23], s[0:1], 0x50
	s_add_i32 s0, s4, -1
	s_mov_b32 s27, 0
	s_cmpk_lt_u32 s0, 0x80
	s_cbranch_scc1 .LBB4_6
; %bb.3:
	s_add_i32 s0, s5, -1
	s_delay_alu instid0(SALU_CYCLE_1)
	s_cmpk_lt_u32 s0, 0x80
	s_mov_b32 s0, 0
	s_cbranch_scc1 .LBB4_10
; %bb.4:
	s_add_i32 s0, s4, 0x7f
	s_add_i32 s1, s5, 0x7f
	s_ashr_i32 s12, s0, 31
	s_ashr_i32 s13, s1, 31
	s_lshr_b32 s12, s12, 25
	s_lshr_b32 s13, s13, 25
	s_add_i32 s0, s0, s12
	s_add_i32 s12, s1, s13
	s_ashr_i32 s1, s0, 7
	s_ashr_i32 s0, s12, 7
	;; [unrolled: 1-line block ×3, first 2 shown]
	s_mul_i32 s12, s0, s1
	s_delay_alu instid0(SALU_CYCLE_1) | instskip(NEXT) | instid1(SALU_CYCLE_1)
	s_add_i32 s13, s12, 7
	s_ashr_i32 s26, s13, 31
	s_delay_alu instid0(SALU_CYCLE_1) | instskip(NEXT) | instid1(SALU_CYCLE_1)
	s_lshr_b32 s26, s26, 29
	s_add_i32 s26, s13, s26
	s_lshr_b32 s13, s28, 29
	s_and_b32 s29, s26, -8
	s_add_i32 s28, s14, s13
	s_sub_i32 s13, s12, s29
	s_and_b32 s12, s28, -8
	s_add_i32 s13, s13, 8
	s_sub_i32 s14, s14, s12
	s_ashr_i32 s26, s26, 3
	s_cmp_gt_i32 s14, s13
	s_cbranch_scc1 .LBB4_7
; %bb.5:
	s_mul_i32 s12, s26, s14
	s_ashr_i32 s28, s28, 3
	s_cbranch_execz .LBB4_8
	s_branch .LBB4_9
.LBB4_6:
	s_mov_b32 s26, 0
	s_branch .LBB4_11
.LBB4_7:
                                        ; implicit-def: $sgpr12
	s_ashr_i32 s28, s28, 3
.LBB4_8:
	s_add_i32 s12, s26, -1
	s_delay_alu instid0(SALU_CYCLE_1) | instskip(NEXT) | instid1(SALU_CYCLE_1)
	s_mul_i32 s12, s12, s14
	s_add_i32 s12, s13, s12
.LBB4_9:
	s_abs_i32 s13, s0
	s_add_i32 s12, s12, s28
	v_cvt_f32_u32_e32 v0, s13
	s_sub_i32 s26, 0, s13
	s_abs_i32 s28, s12
	s_delay_alu instid0(VALU_DEP_1) | instskip(SKIP_2) | instid1(VALU_DEP_1)
	v_rcp_iflag_f32_e32 v0, v0
	s_waitcnt_depctr 0xfff
	v_mul_f32_e32 v0, 0x4f7ffffe, v0
	v_cvt_u32_f32_e32 v0, v0
	s_delay_alu instid0(VALU_DEP_1) | instskip(NEXT) | instid1(VALU_DEP_1)
	v_readfirstlane_b32 s14, v0
	s_mul_i32 s26, s26, s14
	s_delay_alu instid0(SALU_CYCLE_1) | instskip(NEXT) | instid1(SALU_CYCLE_1)
	s_mul_hi_u32 s26, s14, s26
	s_add_i32 s14, s14, s26
	s_xor_b32 s26, s12, s0
	s_mul_hi_u32 s14, s28, s14
	s_ashr_i32 s26, s26, 31
	s_mul_i32 s29, s14, s13
	s_delay_alu instid0(SALU_CYCLE_1)
	s_sub_i32 s28, s28, s29
	s_add_i32 s29, s14, 1
	s_sub_i32 s30, s28, s13
	s_cmp_ge_u32 s28, s13
	s_cselect_b32 s14, s29, s14
	s_cselect_b32 s28, s30, s28
	s_add_i32 s29, s14, 1
	s_cmp_ge_u32 s28, s13
	s_cselect_b32 s13, s29, s14
	s_lshr_b32 s14, s1, 30
	s_xor_b32 s13, s13, s26
	s_add_i32 s14, s1, s14
	s_sub_i32 s13, s13, s26
	s_and_b32 s14, s14, -4
	s_mul_i32 s26, s13, s0
	s_sub_i32 s1, s1, s14
	s_sub_i32 s12, s12, s26
	s_cmp_ge_i32 s13, s14
	s_cselect_b32 s1, s1, 4
	s_ashr_i32 s26, s13, 31
	s_abs_i32 s14, s1
	s_lshr_b32 s26, s26, 30
	v_cvt_f32_u32_e32 v0, s14
	s_add_i32 s26, s13, s26
	s_sub_i32 s29, 0, s14
	s_and_b32 s26, s26, -4
	s_delay_alu instid0(SALU_CYCLE_1) | instskip(SKIP_2) | instid1(SALU_CYCLE_1)
	s_sub_i32 s26, s13, s26
	v_rcp_iflag_f32_e32 v0, v0
	s_mul_i32 s0, s26, s0
	s_add_i32 s12, s0, s12
	s_waitcnt_depctr 0xfff
	v_mul_f32_e32 v0, 0x4f7ffffe, v0
	s_delay_alu instid0(VALU_DEP_1) | instskip(NEXT) | instid1(VALU_DEP_1)
	v_cvt_u32_f32_e32 v0, v0
	v_readfirstlane_b32 s28, v0
	s_delay_alu instid0(VALU_DEP_1) | instskip(NEXT) | instid1(SALU_CYCLE_1)
	s_mul_i32 s29, s29, s28
	s_mul_hi_u32 s0, s28, s29
	s_abs_i32 s29, s12
	s_add_i32 s28, s28, s0
	s_delay_alu instid0(SALU_CYCLE_1)
	s_mul_hi_u32 s0, s29, s28
	s_xor_b32 s28, s12, s1
	s_mul_i32 s30, s0, s14
	s_ashr_i32 s28, s28, 31
	s_sub_i32 s29, s29, s30
	s_add_i32 s30, s0, 1
	s_sub_i32 s31, s29, s14
	s_cmp_ge_u32 s29, s14
	s_cselect_b32 s0, s30, s0
	s_cselect_b32 s29, s31, s29
	s_add_i32 s30, s0, 1
	s_cmp_ge_u32 s29, s14
	s_cselect_b32 s0, s30, s0
	s_delay_alu instid0(SALU_CYCLE_1) | instskip(NEXT) | instid1(SALU_CYCLE_1)
	s_xor_b32 s0, s0, s28
	s_sub_i32 s0, s0, s28
	s_delay_alu instid0(SALU_CYCLE_1) | instskip(NEXT) | instid1(SALU_CYCLE_1)
	s_mul_i32 s1, s0, s1
	s_sub_i32 s1, s12, s1
	s_delay_alu instid0(SALU_CYCLE_1) | instskip(NEXT) | instid1(SALU_CYCLE_1)
	s_add_i32 s1, s1, s13
	s_sub_i32 s14, s1, s26
.LBB4_10:
	s_delay_alu instid0(SALU_CYCLE_1)
	s_mov_b32 s26, s14
	s_mov_b32 s14, s0
.LBB4_11:
	s_waitcnt lgkmcnt(0)
	s_mul_i32 s0, s3, s15
	s_ashr_i32 s1, s3, 31
	s_mul_i32 s12, s0, s5
	s_add_i32 s11, s11, -1
	s_lshr_b32 s13, s12, 31
	s_lshr_b32 s1, s1, 25
	s_add_i32 s12, s12, s13
	s_add_i32 s1, s3, s1
	s_mul_i32 s13, s11, s3
	s_ashr_i32 s12, s12, 1
	s_ashr_i32 s28, s1, 7
	s_sub_i32 s1, s6, s13
	s_cmp_gt_i32 s11, s15
	s_mul_i32 s28, s28, s15
	s_cselect_b32 s30, s3, s1
	s_ashr_i32 s1, s0, 31
	v_lshlrev_b32_e32 v0, 1, v73
	s_lshl_b64 s[0:1], s[0:1], 1
	v_lshrrev_b32_e32 v38, 1, v73
	s_add_u32 s0, s16, s0
	s_addc_u32 s1, s17, s1
	s_ashr_i32 s3, s12, 31
	s_add_u32 s12, s18, s12
	s_addc_u32 s13, s19, s3
	s_ashr_i32 s29, s28, 31
	v_and_b32_e32 v29, 2, v0
	s_lshl_b64 s[16:17], s[28:29], 1
	v_bfe_u32 v2, v73, 1, 2
	s_add_u32 s16, s22, s16
	s_addc_u32 s17, s23, s17
	s_add_u32 s6, 0, 0
	s_addc_u32 s11, s4, -1
	s_ashr_i32 s3, s8, 31
	v_and_b32_e32 v1, 0x7c, v38
	s_lshr_b32 s3, s3, 26
	v_and_b32_e32 v28, 7, v73
	s_add_i32 s3, s8, s3
	s_add_i32 s8, s30, 0x7f
	v_and_b32_e32 v45, 4, v38
	s_ashr_i32 s18, s8, 31
	s_lshl_b32 s19, s26, 7
	v_lshl_or_b32 v46, v29, 2, v2
	v_bfe_u32 v30, v73, 3, 4
	v_lshrrev_b32_e32 v2, 3, v73
	v_and_b32_e32 v5, 15, v73
	s_lshr_b32 s18, s18, 25
	v_add_nc_u32_e32 v34, s19, v1
	v_xor_b32_e32 v0, v45, v28
	v_lshlrev_b32_e32 v1, 6, v1
	s_add_i32 s8, s8, s18
	v_xor_b32_e32 v31, v46, v30
	s_ashr_i32 s18, s8, 7
	s_lshl_b32 s8, s14, 7
	v_lshlrev_b32_e32 v2, 8, v2
	v_and_or_b32 v5, 0x70, v38, v5
	v_add_nc_u32_e32 v4, s8, v38
	v_lshlrev_b32_e32 v6, 4, v29
	v_lshl_or_b32 v21, v0, 3, v1
	v_mov_b32_e32 v1, 2
	v_lshl_or_b32 v32, v31, 4, v2
	v_and_b32_e32 v47, 3, v73
	v_bfe_u32 v25, v5, 2, 4
	v_lshrrev_b32_e32 v2, 2, v5
	v_mul_lo_u32 v35, v34, s7
	scratch_store_b32 off, v1, off offset:512 ; 4-byte Folded Spill
	v_lshl_or_b32 v1, v4, 6, v6
	v_or_b32_e32 v4, s8, v5
	s_ashr_i32 s3, s3, 6
	v_lshlrev_b32_e32 v36, 3, v28
	v_lshlrev_b32_e32 v6, 3, v73
	scratch_store_b32 off, v5, off offset:648 ; 4-byte Folded Spill
	v_bfe_u32 v22, v73, 1, 3
	v_xor_b32_e32 v26, v25, v47
	v_lshlrev_b32_e32 v2, 8, v2
	scratch_store_b32 off, v6, off offset:652 ; 4-byte Folded Spill
	s_mul_i32 s19, s5, s3
	s_add_i32 s3, s5, -1
	s_ashr_i32 s14, s2, 31
	v_mul_lo_u32 v23, v4, s10
	s_mul_i32 s3, s10, s3
	s_lshr_b32 s10, s14, 29
	v_add_nc_u32_e32 v3, v35, v36
	v_and_or_b32 v27, v6, 8, v22
	v_lshl_or_b32 v24, v26, 4, v2
	s_add_i32 s2, s2, s10
	s_mul_i32 s15, s11, s7
	s_lshl_b32 s22, s5, 6
	s_add_i32 s18, s18, s3
	s_ashr_i32 s29, s2, 3
	; sched_barrier mask(0x00000000)
	v_or_b32_e32 v39, 1, v29
	v_or_b32_e32 v43, 1, v45
	;; [unrolled: 1-line block ×5, first 2 shown]
	v_sub_nc_u32_e32 v2, v39, v29
	v_or_b32_e32 v48, 4, v47
	s_mov_b32 s3, 0x31004000
	v_sub_nc_u32_e32 v29, v29, v39
	v_xor_b32_e32 v43, v43, v28
	v_lshlrev_b32_e32 v33, 4, v2
	v_add_nc_u32_e32 v2, s7, v3
	v_xor_b32_e32 v39, v44, v28
	v_xor_b32_e32 v28, v45, v28
	;; [unrolled: 1-line block ×3, first 2 shown]
	v_add_nc_u32_e32 v40, v1, v33
	v_ashrrev_i32_e32 v1, 1, v1
	v_xor_b32_e32 v45, v25, v48
	s_lshl_b32 s14, s19, 5
	s_add_i32 s30, s30, s15
	s_mov_b32 s15, s3
	v_lshl_add_u32 v29, v29, 4, s22
	buffer_load_b64 v[17:18], v1, s[12:15], 0 offen
	v_add_nc_u32_e32 v1, s7, v2
	v_sub_nc_u32_e32 v30, v30, v31
	v_sub_nc_u32_e32 v31, v45, v26
	v_ashrrev_i32_e32 v4, 1, v40
	v_add_nc_u32_e32 v40, v40, v29
	v_add_nc_u32_e32 v41, s7, v1
	v_lshl_add_u32 v30, v30, 4, v32
	v_lshlrev_b32_e32 v31, 4, v31
	s_mul_i32 s10, s7, -3
	v_lshlrev_b32_e32 v2, 1, v2
	v_lshlrev_b32_e32 v9, 1, v41
	v_add3_u32 v41, s10, 64, v41
	v_lshlrev_b32_e32 v37, 1, v3
	v_lshlrev_b32_e32 v5, 1, v1
	v_ashrrev_i32_e32 v60, 1, v30
	v_add_nc_u16 v30, v24, v31
	v_add_nc_u32_e32 v31, v40, v33
	s_lshl_b32 s2, s30, 1
	v_lshrrev_b32_e32 v52, 1, v32
	buffer_load_b64 v[19:20], v4, s[12:15], 0 offen
	s_clause 0x3
	buffer_load_b128 v[13:16], v37, s[0:3], 0 offen
	buffer_load_b128 v[1:4], v2, s[0:3], 0 offen
	;; [unrolled: 1-line block ×4, first 2 shown]
	scratch_store_b32 off, v23, off offset:516 ; 4-byte Folded Spill
	v_lshlrev_b32_e32 v23, 1, v23
	scratch_store_b32 off, v52, off offset:568 ; 4-byte Folded Spill
	v_add_nc_u32_e32 v32, s7, v41
	v_lshlrev_b32_e32 v41, 1, v41
	v_ashrrev_i32_e32 v40, 1, v40
	v_ashrrev_i32_e32 v54, 1, v31
	s_lshl_b32 s18, s18, 1
	s_mov_b32 s19, s3
	v_lshlrev_b32_e32 v42, 1, v21
	buffer_load_u16 v23, v23, s[16:19], 0 offen
	s_clause 0x1
	buffer_load_b64 v[253:254], v40, s[12:15], 0 offen
	buffer_load_b64 v[249:250], v54, s[12:15], 0 offen
	buffer_load_b128 v[61:64], v41, s[0:3], 0 offen
	v_add_nc_u32_e32 v33, s7, v32
	v_lshlrev_b32_e32 v32, 1, v32
	v_or_b32_e32 v49, 8, v47
	v_and_b32_e32 v44, 0x7ff8, v52
	v_sub_nc_u32_e32 v52, v39, v43
	v_lshlrev_b32_e32 v55, 1, v33
	v_add_lshl_u32 v33, v33, s7, 1
	v_xor_b32_e32 v46, v25, v49
	v_sub_nc_u32_e32 v49, v43, v0
	v_sub_nc_u32_e32 v53, v28, v39
	v_lshlrev_b32_e32 v45, 4, v52
	v_lshrrev_b32_e32 v59, 1, v24
	v_lshlrev_b32_e32 v50, 4, v22
	v_lshl_add_u32 v43, v49, 4, v42
	v_lshlrev_b32_e32 v48, 4, v53
	v_ashrrev_i16 v30, 1, v30
	v_xor_b32_e32 v51, 2, v22
	s_mov_b32 s10, 0xf000f
	v_add3_u32 v45, 0x80, v43, v45
	s_mov_b32 s23, 0xf000f0
	v_or_b32_e32 v47, 12, v47
	s_movk_i32 s28, 0x2c00
	v_add_nc_u32_e32 v173, v31, v29
	v_add3_u32 v48, 0x80, v45, v48
	s_waitcnt vmcnt(9)
	v_and_b32_e32 v40, 0xff000000, v18
	v_and_b32_e32 v54, 0xff0000, v18
	;; [unrolled: 1-line block ×4, first 2 shown]
	s_waitcnt vmcnt(8)
	v_and_b32_e32 v57, 0xff000000, v20
	v_and_b32_e32 v58, 0xff0000, v20
	s_waitcnt vmcnt(7)
	ds_store_b128 v42, v[13:16]
	v_or_b32_e32 v13, v54, v40
	v_and_b32_e32 v14, 0xff00, v20
	v_and_b32_e32 v15, 0xff, v20
	v_or_b32_e32 v16, v58, v57
	s_delay_alu instid0(VALU_DEP_4) | instskip(NEXT) | instid1(VALU_DEP_2)
	v_or3_b32 v18, v13, v56, v18
	v_or3_b32 v20, v16, v14, v15
	s_waitcnt vmcnt(0)
	scratch_store_b128 off, v[61:64], off offset:536 ; 16-byte Folded Spill
	s_clause 0x2
	buffer_load_b128 v[201:204], v32, s[0:3], 0 offen
	buffer_load_b128 v[205:208], v55, s[0:3], 0 offen
	;; [unrolled: 1-line block ×3, first 2 shown]
	s_waitcnt vmcnt(0)
	scratch_store_b128 off, v[54:57], off offset:520 ; 16-byte Folded Spill
	ds_store_b128 v43, v[1:4] offset:128
	ds_store_b128 v45, v[5:8] offset:128
	;; [unrolled: 1-line block ×3, first 2 shown]
	ds_store_b64 v44, v[17:18] offset:16384
	scratch_store_b32 off, v60, off offset:576 ; 4-byte Folded Spill
	ds_store_b64 v60, v[19:20] offset:16384
	s_waitcnt lgkmcnt(0)
	s_waitcnt_vscnt null, 0x0
	s_barrier
	ds_load_b64 v[1:2], v59 offset:16384
	v_xor_b32_e32 v6, 3, v22
	v_sub_nc_u32_e32 v7, v46, v26
	v_bfe_i32 v3, v30, 0, 16
	v_lshl_or_b32 v30, v27, 7, v50
	v_sub_nc_u32_e32 v8, v51, v22
	v_sub_nc_u32_e32 v6, v6, v22
	v_lshlrev_b32_e32 v7, 4, v7
	s_clause 0x1
	scratch_store_b32 off, v59, off offset:572
	scratch_store_b32 off, v3, off offset:580
	ds_load_b64 v[3:4], v3 offset:16384
	v_lshl_add_u32 v33, v6, 4, v30
	v_add_nc_u16 v6, v24, v7
	v_lshl_add_u32 v32, v8, 4, v30
	ds_load_b128 v[174:177], v32
	ds_load_b128 v[165:168], v33 offset:14336
	v_xor_b32_e32 v5, v25, v47
	s_waitcnt lgkmcnt(3)
	v_and_or_b32 v9, v2, s10, 0x64006400
	v_and_or_b32 v10, v2, s23, 0x64006400
	v_ashrrev_i32_e32 v12, 8, v2
	v_xor_b32_e32 v2, 6, v22
	v_and_or_b32 v7, v1, s10, 0x64006400
	v_and_or_b32 v8, v1, s23, 0x64006400
	v_ashrrev_i32_e32 v11, 8, v1
	v_ashrrev_i16 v1, 1, v6
	v_sub_nc_u32_e32 v2, v2, v22
	v_sub_nc_u32_e32 v5, v5, v26
	v_pk_add_f16 v7, 0xe408, v7 op_sel_hi:[0,1]
	s_waitcnt lgkmcnt(2)
	v_and_or_b32 v13, v3, s10, 0x64006400
	v_bfe_i32 v1, v1, 0, 16
	v_lshl_add_u32 v40, v2, 4, v30
	v_lshlrev_b32_e32 v5, 4, v5
	v_pk_mul_f16 v233, v23, v7 op_sel_hi:[0,1]
	v_pk_add_f16 v7, 0xe408, v9 op_sel_hi:[0,1]
	scratch_store_b32 off, v1, off offset:596 ; 4-byte Folded Spill
	ds_load_b64 v[1:2], v1 offset:16384
	ds_load_b128 v[97:100], v40
	v_add_nc_u16 v5, v24, v5
	v_and_or_b32 v14, v3, s23, 0x64006400
	v_pk_mul_f16 v237, v23, v7 op_sel_hi:[0,1]
	v_pk_fma_f16 v7, v10, s28, 0xd480 op_sel_hi:[1,0,0]
	v_pk_fma_f16 v8, v8, s28, 0xd480 op_sel_hi:[1,0,0]
	v_ashrrev_i32_e32 v3, 8, v3
	v_and_or_b32 v15, v4, s10, 0x64006400
	v_and_or_b32 v16, v4, s23, 0x64006400
	v_pk_mul_f16 v238, v23, v7 op_sel_hi:[0,1]
	v_pk_add_f16 v7, 0xe408, v13 op_sel_hi:[0,1]
	v_pk_mul_f16 v234, v23, v8 op_sel_hi:[0,1]
	v_pk_fma_f16 v8, v14, s28, 0xd480 op_sel_hi:[1,0,0]
	v_ashrrev_i32_e32 v4, 8, v4
	s_delay_alu instid0(VALU_DEP_4) | instskip(SKIP_1) | instid1(VALU_DEP_4)
	v_pk_mul_f16 v129, v23, v7 op_sel_hi:[0,1]
	v_pk_add_f16 v7, 0xe408, v15 op_sel_hi:[0,1]
	v_pk_mul_f16 v130, v23, v8 op_sel_hi:[0,1]
	s_waitcnt lgkmcnt(1)
	v_and_or_b32 v19, v2, s10, 0x64006400
	v_and_or_b32 v20, v2, s23, 0x64006400
	v_ashrrev_i32_e32 v24, 8, v2
	v_xor_b32_e32 v2, 7, v22
	v_and_or_b32 v6, v1, s10, 0x64006400
	v_and_or_b32 v17, v1, s23, 0x64006400
	v_ashrrev_i32_e32 v18, 8, v1
	v_ashrrev_i16 v1, 1, v5
	v_sub_nc_u32_e32 v2, v2, v22
	v_pk_add_f16 v6, 0xe408, v6 op_sel_hi:[0,1]
	v_pk_mul_f16 v133, v23, v7 op_sel_hi:[0,1]
	v_pk_fma_f16 v7, v16, s28, 0xd480 op_sel_hi:[1,0,0]
	v_bfe_i32 v1, v1, 0, 16
	v_lshl_add_u32 v74, v2, 4, v30
	v_pk_mul_f16 v41, v23, v6 op_sel_hi:[0,1]
	v_pk_add_f16 v6, 0xe408, v19 op_sel_hi:[0,1]
	v_pk_mul_f16 v134, v23, v7 op_sel_hi:[0,1]
	scratch_store_b32 off, v1, off offset:604 ; 4-byte Folded Spill
	ds_load_b64 v[1:2], v1 offset:16384
	ds_load_b128 v[78:81], v74 offset:14336
	v_pk_fma_f16 v7, v17, s28, 0xd480 op_sel_hi:[1,0,0]
	v_pk_mul_f16 v45, v23, v6 op_sel_hi:[0,1]
	v_pk_fma_f16 v6, v20, s28, 0xd480 op_sel_hi:[1,0,0]
	s_delay_alu instid0(VALU_DEP_3) | instskip(NEXT) | instid1(VALU_DEP_2)
	v_pk_mul_f16 v42, v23, v7 op_sel_hi:[0,1]
	v_pk_mul_f16 v46, v23, v6 op_sel_hi:[0,1]
	s_waitcnt lgkmcnt(1)
	v_and_or_b32 v5, v1, s10, 0x64006400
	v_and_or_b32 v26, v2, s10, 0x64006400
	;; [unrolled: 1-line block ×4, first 2 shown]
	v_ashrrev_i32_e32 v1, 8, v1
	v_pk_add_f16 v5, 0xe408, v5 op_sel_hi:[0,1]
	v_ashrrev_i32_e32 v2, 8, v2
	s_delay_alu instid0(VALU_DEP_4) | instskip(NEXT) | instid1(VALU_DEP_3)
	v_pk_fma_f16 v6, v25, s28, 0xd480 op_sel_hi:[1,0,0]
	v_pk_mul_f16 v9, v23, v5 op_sel_hi:[0,1]
	v_pk_add_f16 v5, 0xe408, v26 op_sel_hi:[0,1]
	s_delay_alu instid0(VALU_DEP_3) | instskip(NEXT) | instid1(VALU_DEP_2)
	v_pk_mul_f16 v10, v23, v6 op_sel_hi:[0,1]
	v_pk_mul_f16 v13, v23, v5 op_sel_hi:[0,1]
	v_pk_fma_f16 v5, v27, s28, 0xd480 op_sel_hi:[1,0,0]
	s_delay_alu instid0(VALU_DEP_1) | instskip(SKIP_1) | instid1(VALU_DEP_1)
	v_pk_mul_f16 v14, v23, v5 op_sel_hi:[0,1]
	v_and_or_b32 v5, v11, s10, 0x64006400
	v_pk_add_f16 v5, 0xe408, v5 op_sel_hi:[0,1]
	s_delay_alu instid0(VALU_DEP_1) | instskip(SKIP_1) | instid1(VALU_DEP_1)
	v_pk_mul_f16 v235, v23, v5 op_sel_hi:[0,1]
	v_and_or_b32 v5, v11, s23, 0x64006400
	v_pk_fma_f16 v5, v5, s28, 0xd480 op_sel_hi:[1,0,0]
	s_delay_alu instid0(VALU_DEP_1) | instskip(SKIP_1) | instid1(VALU_DEP_1)
	v_pk_mul_f16 v236, v23, v5 op_sel_hi:[0,1]
	v_and_or_b32 v5, v12, s10, 0x64006400
	v_pk_add_f16 v5, 0xe408, v5 op_sel_hi:[0,1]
	s_delay_alu instid0(VALU_DEP_1) | instskip(SKIP_1) | instid1(VALU_DEP_1)
	v_pk_mul_f16 v239, v23, v5 op_sel_hi:[0,1]
	v_and_or_b32 v5, v12, s23, 0x64006400
	v_pk_fma_f16 v5, v5, s28, 0xd480 op_sel_hi:[1,0,0]
	s_delay_alu instid0(VALU_DEP_1) | instskip(SKIP_2) | instid1(VALU_DEP_2)
	v_pk_mul_f16 v240, v23, v5 op_sel_hi:[0,1]
	v_and_or_b32 v5, v3, s10, 0x64006400
	v_and_or_b32 v3, v3, s23, 0x64006400
	v_pk_add_f16 v5, 0xe408, v5 op_sel_hi:[0,1]
	s_delay_alu instid0(VALU_DEP_2) | instskip(NEXT) | instid1(VALU_DEP_2)
	v_pk_fma_f16 v3, v3, s28, 0xd480 op_sel_hi:[1,0,0]
	v_pk_mul_f16 v131, v23, v5 op_sel_hi:[0,1]
	s_delay_alu instid0(VALU_DEP_2) | instskip(SKIP_2) | instid1(VALU_DEP_2)
	v_pk_mul_f16 v132, v23, v3 op_sel_hi:[0,1]
	v_and_or_b32 v3, v4, s10, 0x64006400
	v_lshlrev_b32_e32 v5, 3, v49
	v_pk_add_f16 v3, 0xe408, v3 op_sel_hi:[0,1]
	scratch_store_b32 off, v5, off offset:616 ; 4-byte Folded Spill
	v_add_nc_u32_e32 v5, 64, v5
	v_pk_mul_f16 v135, v23, v3 op_sel_hi:[0,1]
	v_and_or_b32 v3, v4, s23, 0x64006400
	v_lshlrev_b32_e32 v4, 3, v52
	s_delay_alu instid0(VALU_DEP_2)
	v_pk_fma_f16 v3, v3, s28, 0xd480 op_sel_hi:[1,0,0]
	scratch_store_b32 off, v4, off offset:612 ; 4-byte Folded Spill
	v_add_nc_u32_e32 v4, 64, v4
	s_clause 0x1
	scratch_store_b32 off, v4, off offset:620
	scratch_store_b32 off, v5, off offset:624
	v_pk_mul_f16 v136, v23, v3 op_sel_hi:[0,1]
	v_and_or_b32 v3, v18, s10, 0x64006400
	v_add3_u32 v4, v5, v21, v4
	v_sub_nc_u32_e32 v5, v0, v28
	s_delay_alu instid0(VALU_DEP_3) | instskip(NEXT) | instid1(VALU_DEP_3)
	v_pk_add_f16 v3, 0xe408, v3 op_sel_hi:[0,1]
	v_lshl_add_u32 v4, v53, 3, v4
	s_delay_alu instid0(VALU_DEP_3) | instskip(NEXT) | instid1(VALU_DEP_3)
	v_lshlrev_b32_e32 v5, 3, v5
	v_pk_mul_f16 v43, v23, v3 op_sel_hi:[0,1]
	v_and_or_b32 v3, v18, s23, 0x64006400
	s_delay_alu instid0(VALU_DEP_3) | instskip(NEXT) | instid1(VALU_DEP_2)
	v_add3_u32 v196, v4, v5, 0xffffff80
	v_pk_fma_f16 v3, v3, s28, 0xd480 op_sel_hi:[1,0,0]
	s_delay_alu instid0(VALU_DEP_1) | instskip(SKIP_1) | instid1(VALU_DEP_1)
	v_pk_mul_f16 v44, v23, v3 op_sel_hi:[0,1]
	v_and_or_b32 v3, v24, s10, 0x64006400
	v_pk_add_f16 v3, 0xe408, v3 op_sel_hi:[0,1]
	s_delay_alu instid0(VALU_DEP_1) | instskip(SKIP_1) | instid1(VALU_DEP_1)
	v_pk_mul_f16 v47, v23, v3 op_sel_hi:[0,1]
	v_and_or_b32 v3, v24, s23, 0x64006400
	v_pk_fma_f16 v3, v3, s28, 0xd480 op_sel_hi:[1,0,0]
	s_delay_alu instid0(VALU_DEP_1) | instskip(SKIP_2) | instid1(VALU_DEP_2)
	v_pk_mul_f16 v48, v23, v3 op_sel_hi:[0,1]
	v_and_or_b32 v3, v1, s10, 0x64006400
	v_and_or_b32 v1, v1, s23, 0x64006400
	v_pk_add_f16 v3, 0xe408, v3 op_sel_hi:[0,1]
	s_delay_alu instid0(VALU_DEP_2) | instskip(NEXT) | instid1(VALU_DEP_2)
	v_pk_fma_f16 v1, v1, s28, 0xd480 op_sel_hi:[1,0,0]
	v_pk_mul_f16 v11, v23, v3 op_sel_hi:[0,1]
	s_delay_alu instid0(VALU_DEP_2) | instskip(SKIP_2) | instid1(VALU_DEP_2)
	v_pk_mul_f16 v12, v23, v1 op_sel_hi:[0,1]
	v_and_or_b32 v1, v2, s10, 0x64006400
	v_xor_b32_e32 v3, 5, v22
	v_pk_add_f16 v1, 0xe408, v1 op_sel_hi:[0,1]
	s_delay_alu instid0(VALU_DEP_2) | instskip(NEXT) | instid1(VALU_DEP_2)
	v_sub_nc_u32_e32 v3, v3, v22
	v_pk_mul_f16 v15, v23, v1 op_sel_hi:[0,1]
	v_and_or_b32 v1, v2, s23, 0x64006400
	v_xor_b32_e32 v2, 4, v22
	s_delay_alu instid0(VALU_DEP_4) | instskip(NEXT) | instid1(VALU_DEP_3)
	v_lshl_add_u32 v76, v3, 4, v30
	v_pk_fma_f16 v1, v1, s28, 0xd480 op_sel_hi:[1,0,0]
	s_delay_alu instid0(VALU_DEP_3) | instskip(NEXT) | instid1(VALU_DEP_2)
	v_sub_nc_u32_e32 v2, v2, v22
	v_pk_mul_f16 v16, v23, v1 op_sel_hi:[0,1]
	v_xor_b32_e32 v1, 1, v22
	s_delay_alu instid0(VALU_DEP_3) | instskip(NEXT) | instid1(VALU_DEP_2)
	v_lshl_add_u32 v75, v2, 4, v30
	v_sub_nc_u32_e32 v1, v1, v22
	s_delay_alu instid0(VALU_DEP_1)
	v_lshl_add_u32 v17, v1, 4, v30
	ds_load_b128 v[157:160], v17
	ds_load_b128 v[153:156], v30
	ds_load_b128 v[145:148], v30 offset:2048
	ds_load_b128 v[149:152], v17 offset:2048
	;; [unrolled: 1-line block ×12, first 2 shown]
	s_waitcnt lgkmcnt(0)
	s_clause 0x2
	scratch_store_b128 off, v[1:4], off offset:352
	scratch_store_b128 off, v[5:8], off offset:368
	scratch_store_b32 off, v30, off offset:584
	ds_load_b128 v[1:4], v30 offset:14336
	ds_load_b128 v[5:8], v17 offset:14336
	scratch_store_b32 off, v17, off offset:628 ; 4-byte Folded Spill
	s_waitcnt lgkmcnt(0)
	s_clause 0x1
	scratch_store_b128 off, v[1:4], off offset:288
	scratch_store_b128 off, v[5:8], off offset:304
	ds_load_b128 v[5:8], v33 offset:2048
	ds_load_b128 v[1:4], v32 offset:2048
	s_waitcnt lgkmcnt(0)
	s_clause 0x1
	scratch_store_b128 off, v[1:4], off offset:256
	scratch_store_b128 off, v[5:8], off offset:272
	ds_load_b128 v[1:4], v32 offset:4096
	ds_load_b128 v[5:8], v33 offset:4096
	;; [unrolled: 6-line block ×4, first 2 shown]
	ds_load_b128 v[69:72], v33 offset:10240
	ds_load_b128 v[65:68], v32 offset:10240
	;; [unrolled: 1-line block ×4, first 2 shown]
	ds_load_b128 v[178:181], v33
	scratch_store_b32 off, v33, off offset:592 ; 4-byte Folded Spill
	s_waitcnt lgkmcnt(0)
	s_clause 0x2
	scratch_store_b128 off, v[174:177], off offset:480
	scratch_store_b128 off, v[178:181], off offset:496
	scratch_store_b32 off, v32, off offset:588
	ds_load_b128 v[161:164], v32 offset:14336
	s_waitcnt lgkmcnt(0)
	s_clause 0x1
	scratch_store_b128 off, v[161:164], off offset:320
	scratch_store_b128 off, v[165:168], off offset:336
	ds_load_b128 v[53:56], v76
	ds_load_b128 v[49:52], v75
	ds_load_b128 v[25:28], v75 offset:2048
	ds_load_b128 v[29:32], v76 offset:2048
	;; [unrolled: 1-line block ×12, first 2 shown]
	s_waitcnt lgkmcnt(0)
	s_clause 0x2
	scratch_store_b128 off, v[1:4], off offset:416
	scratch_store_b128 off, v[5:8], off offset:432
	scratch_store_b32 off, v75, off offset:632
	ds_load_b128 v[1:4], v75 offset:14336
	ds_load_b128 v[5:8], v76 offset:14336
	scratch_store_b32 off, v76, off offset:636 ; 4-byte Folded Spill
	s_waitcnt lgkmcnt(0)
	s_clause 0x1
	scratch_store_b128 off, v[1:4], off offset:384
	scratch_store_b128 off, v[5:8], off offset:400
	ds_load_b128 v[5:8], v74 offset:2048
	ds_load_b128 v[1:4], v40 offset:2048
	s_waitcnt lgkmcnt(0)
	s_clause 0x1
	scratch_store_b128 off, v[1:4], off offset:224
	scratch_store_b128 off, v[5:8], off offset:240
	ds_load_b128 v[1:4], v40 offset:4096
	ds_load_b128 v[5:8], v74 offset:4096
	;; [unrolled: 6-line block ×3, first 2 shown]
	ds_load_b128 v[1:4], v40 offset:8192
	ds_load_b128 v[5:8], v74 offset:8192
	s_waitcnt lgkmcnt(0)
	s_clause 0x1
	scratch_store_b128 off, v[1:4], off offset:32
	scratch_store_b128 off, v[5:8], off offset:48
	ds_load_b128 v[5:8], v74 offset:10240
	ds_load_b128 v[1:4], v40 offset:10240
	s_waitcnt lgkmcnt(0)
	s_clause 0x1
	scratch_store_b128 off, v[1:4], off offset:128
	scratch_store_b128 off, v[5:8], off offset:144
	;; [unrolled: 6-line block ×3, first 2 shown]
	scratch_store_b32 off, v74, off offset:608
	ds_load_b128 v[101:104], v74
	s_waitcnt lgkmcnt(0)
	s_clause 0x2
	scratch_store_b128 off, v[97:100], off offset:64
	scratch_store_b128 off, v[101:104], off offset:80
	scratch_store_b32 off, v40, off offset:600
	ds_load_b128 v[74:77], v40 offset:14336
	v_mov_b32_e32 v33, 0
	s_waitcnt lgkmcnt(0)
	s_clause 0x1
	scratch_store_b128 off, v[74:77], off
	scratch_store_b128 off, v[78:81], off offset:16
	; sched_barrier mask(0x00000000)
	v_or_b32_e32 v1, 3, v38
	v_add_nc_u32_e32 v3, 3, v34
	v_add_nc_u32_e32 v4, 2, v34
	v_mov_b32_e32 v34, v33
	v_add3_u32 v5, v35, s7, v36
	v_mov_b32_e32 v35, v33
	v_xor_b32_e32 v1, v1, v73
	v_dual_mov_b32 v38, v33 :: v_dual_add_nc_u32 v197, 0x100, v37
	v_mov_b32_e32 v251, 2
	v_lshl_add_u32 v198, v5, 1, 0x100
	s_delay_alu instid0(VALU_DEP_4) | instskip(SKIP_3) | instid1(VALU_DEP_4)
	v_and_b32_e32 v6, 7, v1
	v_mad_u64_u32 v[1:2], null, s7, v3, v[36:37]
	v_mad_u64_u32 v[2:3], null, s7, v4, v[36:37]
	v_mov_b32_e32 v37, v33
	v_sub_nc_u32_e32 v4, v0, v6
	v_sub_nc_u32_e32 v3, v6, v39
	v_mov_b32_e32 v36, v33
	v_lshl_add_u32 v199, v1, 1, 0x100
	v_mov_b32_e32 v39, v33
	v_lshl_add_u32 v0, v4, 3, 0xffffff40
	scratch_store_b32 off, v73, off offset:644 ; 4-byte Folded Spill
	v_lshlrev_b32_e32 v200, 3, v3
	v_lshl_add_u32 v174, v2, 1, 0x100
	v_dual_mov_b32 v40, v33 :: v_dual_mov_b32 v175, 2
	scratch_store_b32 off, v0, off offset:640 ; 4-byte Folded Spill
	s_clause 0x1
	scratch_load_b32 v193, off, off offset:600
	scratch_load_b32 v194, off, off offset:608
	v_mov_b32_e32 v73, v33
	v_mov_b32_e32 v74, v33
	;; [unrolled: 1-line block ×56, first 2 shown]
	s_add_i32 s29, s29, -1
	s_delay_alu instid0(SALU_CYCLE_1)
	s_max_i32 s7, s29, 1
	s_movk_i32 s29, 0x90
.LBB4_12:                               ; =>This Inner Loop Header: Depth=1
	s_waitcnt vmcnt(0) lgkmcnt(0)
	s_waitcnt_vscnt null, 0x0
	s_barrier
	v_wmma_f32_16x16x16_f16 v[1:8], v[153:160], v[233:240], v[1:8]
	scratch_load_b128 v[169:172], off, off offset:536 ; 16-byte Folded Reload
	v_lshlrev_b32_e32 v255, 1, v196
	scratch_load_b32 v252, off, off offset:512 ; 4-byte Folded Reload
	s_and_not1_b32 s30, 1, s27
	s_waitcnt vmcnt(1)
	ds_store_b128 v255, v[169:172]
	v_wmma_f32_16x16x16_f16 v[225:232], v[145:152], v[233:240], v[225:232]
	scratch_load_b32 v0, off, off offset:616 ; 4-byte Folded Reload
	s_waitcnt vmcnt(0)
	v_lshl_add_u32 v153, v0, 1, v255
	ds_store_b128 v153, v[201:204] offset:128
	v_wmma_f32_16x16x16_f16 v[185:192], v[137:144], v[233:240], v[185:192]
	v_wmma_f32_16x16x16_f16 v[161:168], v[121:128], v[233:240], v[161:168]
	s_clause 0x1
	scratch_load_b32 v0, off, off offset:612
	scratch_load_b128 v[138:141], off, off offset:520
	v_and_b32_e32 v121, 0xff000000, v254
	v_and_b32_e32 v122, 0xff0000, v254
	v_lshlrev_b32_e32 v137, 1, v200
	v_and_b32_e32 v123, 0xff, v254
	v_add_nc_u32_e64 v202, 3, s27
	s_delay_alu instid0(VALU_DEP_4) | instskip(SKIP_1) | instid1(VALU_DEP_1)
	v_or_b32_e32 v121, v122, v121
	v_and_b32_e32 v122, 0xff00, v254
	v_or3_b32 v254, v121, v122, v123
	s_waitcnt vmcnt(1)
	v_lshlrev_b32_e32 v145, 1, v0
	scratch_load_b32 v0, off, off offset:568 ; 4-byte Folded Reload
	v_add3_u32 v145, 0x80, v153, v145
	s_delay_alu instid0(VALU_DEP_1)
	v_add3_u32 v137, 0x80, v145, v137
	ds_store_b128 v145, v[205:208] offset:128
	s_waitcnt vmcnt(1)
	ds_store_b128 v137, v[138:141] offset:128
	s_waitcnt vmcnt(0)
	ds_store_b64 v0, v[253:254] offset:16384
	scratch_load_b32 v0, off, off offset:576 ; 4-byte Folded Reload
	v_wmma_f32_16x16x16_f16 v[97:104], v[113:120], v[233:240], v[97:104]
	v_and_b32_e32 v113, 0xff000000, v250
	v_and_b32_e32 v114, 0xff0000, v250
	;; [unrolled: 1-line block ×3, first 2 shown]
	s_delay_alu instid0(VALU_DEP_2) | instskip(SKIP_1) | instid1(VALU_DEP_1)
	v_or_b32_e32 v113, v114, v113
	v_and_b32_e32 v114, 0xff00, v250
	v_or3_b32 v250, v113, v114, v115
	v_lshrrev_b32_e32 v113, 31, v173
	s_delay_alu instid0(VALU_DEP_1) | instskip(NEXT) | instid1(VALU_DEP_1)
	v_add_nc_u32_e32 v113, v173, v113
	v_ashrrev_i32_e32 v113, 1, v113
	s_waitcnt vmcnt(0)
	ds_store_b64 v0, v[249:250] offset:16384
	buffer_load_b128 v[154:157], v197, s[0:3], 0 offen
	scratch_load_b32 v0, off, off offset:516 ; 4-byte Folded Reload
	; sched_group_barrier mask(0x00000200) size(1) SyncID(0)
	; sched_group_barrier mask(0x00000008) size(1) SyncID(0)
	; sched_group_barrier mask(0x00000020) size(1) SyncID(0)
	; sched_group_barrier mask(0x00000008) size(-1) SyncID(0)
	; sched_group_barrier mask(0x00000200) size(1) SyncID(0)
	; sched_group_barrier mask(0x00000008) size(1) SyncID(0)
	; sched_group_barrier mask(0x00000020) size(1) SyncID(0)
	; sched_group_barrier mask(0x00000008) size(-1) SyncID(0)
	;; [unrolled: 4-line block ×4, first 2 shown]
	; sched_group_barrier mask(0x00000200) size(1) SyncID(0)
	; sched_group_barrier mask(0x00000008) size(1) SyncID(0)
	s_waitcnt vmcnt(1)
	scratch_store_b128 off, v[154:157], off offset:536 ; 16-byte Folded Spill
	buffer_load_b128 v[146:149], v198, s[0:3], 0 offen
	; sched_group_barrier mask(0x00000020) size(1) SyncID(0)
	; sched_group_barrier mask(0x00000008) size(-1) SyncID(0)
	; sched_group_barrier mask(0x00000200) size(1) SyncID(0)
	; sched_group_barrier mask(0x00000008) size(1) SyncID(0)
	s_waitcnt vmcnt(0)
	scratch_store_b128 off, v[146:149], off offset:552 ; 16-byte Folded Spill
	s_clause 0x1
	buffer_load_b128 v[121:124], v199, s[0:3], 0 offen
	buffer_load_b128 v[205:208], v174, s[0:3], 0 offen
	v_wmma_f32_16x16x16_f16 v[81:88], v[105:112], v[233:240], v[81:88]
	v_sub_nc_u32_e32 v105, v252, v175
	v_lshlrev_b32_e32 v106, 6, v251
	v_wmma_f32_16x16x16_f16 v[97:104], v[89:96], v[129:136], v[97:104]
	; sched_group_barrier mask(0x00000020) size(1) SyncID(0)
	; sched_group_barrier mask(0x00000008) size(-1) SyncID(0)
	s_delay_alu instid0(VALU_DEP_3) | instskip(NEXT) | instid1(VALU_DEP_3)
	v_mul_lo_u32 v105, s22, v105
	v_sub_nc_u32_e32 v106, s29, v106
	s_delay_alu instid0(VALU_DEP_3) | instskip(NEXT) | instid1(VALU_DEP_2)
	v_wmma_f32_16x16x16_f16 v[97:104], v[217:224], v[41:48], v[97:104]
	v_add3_u32 v105, v173, v105, v106
	s_delay_alu instid0(VALU_DEP_1) | instskip(NEXT) | instid1(VALU_DEP_1)
	v_lshrrev_b32_e32 v106, 31, v105
	v_add_nc_u32_e32 v105, v105, v106
	v_lshlrev_b32_e32 v106, 1, v0
	v_add_nc_u32_e32 v0, s30, v0
	s_delay_alu instid0(VALU_DEP_3)
	v_ashrrev_i32_e32 v105, 1, v105
	s_waitcnt vmcnt(1)
	scratch_store_b128 off, v[121:124], off offset:520 ; 16-byte Folded Spill
	buffer_load_b64 v[253:254], v113, s[12:15], 0 offen
	buffer_load_u16 v255, v106, s[16:19], 0 offen
	buffer_load_b64 v[249:250], v105, s[12:15], 0 offen
	s_waitcnt vmcnt(0) lgkmcnt(0)
	s_waitcnt_vscnt null, 0x0
	s_barrier
	s_clause 0x4
	scratch_load_b128 v[105:108], off, off offset:352
	scratch_load_b32 v201, off, off offset:584
	scratch_load_b128 v[109:112], off, off offset:368
	scratch_load_b32 v170, off, off offset:636
	scratch_load_b32 v169, off, off offset:628
	scratch_store_b32 off, v0, off offset:516 ; 4-byte Folded Spill
	scratch_load_b32 v0, off, off offset:640 ; 4-byte Folded Reload
	s_waitcnt vmcnt(2)
	ds_load_b128 v[221:224], v170 offset:8192
	ds_load_b128 v[153:156], v201
	v_wmma_f32_16x16x16_f16 v[73:80], v[105:112], v[233:240], v[73:80]
	s_clause 0x1
	scratch_load_b128 v[105:108], off, off offset:288
	scratch_load_b128 v[109:112], off, off offset:304
	s_waitcnt vmcnt(3)
	ds_load_b128 v[157:160], v169
	; sched_group_barrier mask(0x00000100) size(1) SyncID(0)
	; sched_group_barrier mask(0x00000008) size(1) SyncID(0)
	;; [unrolled: 1-line block ×5, first 2 shown]
	s_waitcnt vmcnt(0)
	v_wmma_f32_16x16x16_f16 v[33:40], v[105:112], v[233:240], v[33:40]
	s_clause 0x1
	scratch_load_b128 v[105:108], off, off offset:480
	scratch_load_b128 v[109:112], off, off offset:496
	ds_load_b128 v[145:148], v201 offset:2048
	; sched_group_barrier mask(0x00000008) size(1) SyncID(0)
	; sched_group_barrier mask(0x00000100) size(1) SyncID(0)
	s_waitcnt vmcnt(0)
	v_wmma_f32_16x16x16_f16 v[1:8], v[105:112], v[129:136], v[1:8]
	s_clause 0x1
	scratch_load_b128 v[105:108], off, off offset:256
	scratch_load_b128 v[109:112], off, off offset:272
	ds_load_b128 v[149:152], v169 offset:2048
	; sched_group_barrier mask(0x00000008) size(1) SyncID(0)
	; sched_group_barrier mask(0x00000100) size(1) SyncID(0)
	;; [unrolled: 8-line block ×4, first 2 shown]
	s_waitcnt vmcnt(0)
	v_wmma_f32_16x16x16_f16 v[161:168], v[105:112], v[129:136], v[161:168]
	ds_load_b128 v[121:124], v201 offset:6144
	ds_load_b128 v[125:128], v169 offset:6144
	v_wmma_f32_16x16x16_f16 v[81:88], v[65:72], v[129:136], v[81:88]
	ds_load_b128 v[113:116], v201 offset:8192
	v_wmma_f32_16x16x16_f16 v[73:80], v[57:64], v[129:136], v[73:80]
	s_clause 0x1
	scratch_load_b128 v[57:60], off, off offset:320
	scratch_load_b128 v[61:64], off, off offset:336
	ds_load_b128 v[117:120], v169 offset:8192
	; sched_group_barrier mask(0x00000008) size(1) SyncID(0)
	; sched_group_barrier mask(0x00000100) size(1) SyncID(0)
	;; [unrolled: 1-line block ×8, first 2 shown]
	s_waitcnt vmcnt(0)
	v_wmma_f32_16x16x16_f16 v[33:40], v[57:64], v[129:136], v[33:40]
	ds_load_b128 v[105:108], v201 offset:10240
	v_wmma_f32_16x16x16_f16 v[1:8], v[49:56], v[41:48], v[1:8]
	ds_load_b128 v[109:112], v169 offset:10240
	v_wmma_f32_16x16x16_f16 v[225:232], v[25:32], v[41:48], v[225:232]
	ds_load_b128 v[25:28], v201 offset:12288
	v_wmma_f32_16x16x16_f16 v[185:192], v[17:24], v[41:48], v[185:192]
	ds_load_b128 v[29:32], v169 offset:12288
	v_wmma_f32_16x16x16_f16 v[161:168], v[241:248], v[41:48], v[161:168]
	ds_load_b128 v[17:20], v201 offset:14336
	ds_load_b128 v[21:24], v169 offset:14336
	v_wmma_f32_16x16x16_f16 v[81:88], v[209:216], v[41:48], v[81:88]
	s_clause 0x2
	scratch_load_b32 v49, off, off offset:588
	scratch_load_b32 v50, off, off offset:592
	;; [unrolled: 1-line block ×3, first 2 shown]
	ds_load_b128 v[213:216], v170 offset:10240
	ds_load_b128 v[245:248], v170 offset:6144
	v_mov_b32_e32 v201, v174
	; sched_group_barrier mask(0x00000008) size(1) SyncID(0)
	; sched_group_barrier mask(0x00000100) size(1) SyncID(0)
	;; [unrolled: 1-line block ×13, first 2 shown]
	s_waitcnt lgkmcnt(4)
	s_clause 0x1
	scratch_store_b128 off, v[25:28], off offset:352
	scratch_store_b128 off, v[29:32], off offset:368
	s_waitcnt lgkmcnt(2)
	s_clause 0x1
	scratch_store_b128 off, v[17:20], off offset:288
	scratch_store_b128 off, v[21:24], off offset:304
	s_clause 0x2
	scratch_load_b128 v[19:22], off, off offset:416
	scratch_load_b32 v17, off, off offset:572
	scratch_load_b128 v[23:26], off, off offset:432
	s_waitcnt vmcnt(4)
	ds_load_b128 v[61:64], v50 offset:12288
	s_waitcnt vmcnt(3)
	ds_load_b128 v[209:212], v169 offset:10240
	ds_load_b128 v[241:244], v169 offset:6144
	s_waitcnt vmcnt(1)
	ds_load_b64 v[17:18], v17 offset:16384
	s_waitcnt vmcnt(0)
	v_wmma_f32_16x16x16_f16 v[73:80], v[19:26], v[41:48], v[73:80]
	s_clause 0x1
	scratch_load_b128 v[19:22], off, off offset:384
	scratch_load_b128 v[23:26], off, off offset:400
	ds_load_b128 v[51:54], v49
	; sched_group_barrier mask(0x00000100) size(1) SyncID(0)
	; sched_group_barrier mask(0x00000008) size(1) SyncID(0)
	;; [unrolled: 1-line block ×3, first 2 shown]
	s_waitcnt vmcnt(0)
	v_wmma_f32_16x16x16_f16 v[33:40], v[19:26], v[41:48], v[33:40]
	s_clause 0x1
	scratch_load_b128 v[19:22], off, off offset:64
	scratch_load_b128 v[23:26], off, off offset:80
	ds_load_b128 v[55:58], v50
	s_waitcnt lgkmcnt(0)
	s_clause 0x1
	scratch_store_b128 off, v[51:54], off offset:480
	scratch_store_b128 off, v[55:58], off offset:496
	; sched_group_barrier mask(0x00000008) size(1) SyncID(0)
	; sched_group_barrier mask(0x00000100) size(1) SyncID(0)
	s_waitcnt vmcnt(0)
	v_wmma_f32_16x16x16_f16 v[1:8], v[19:26], v[9:16], v[1:8]
	s_clause 0x1
	scratch_load_b128 v[19:22], off, off offset:224
	scratch_load_b128 v[23:26], off, off offset:240
	ds_load_b128 v[41:44], v49 offset:2048
	; sched_group_barrier mask(0x00000008) size(1) SyncID(0)
	; sched_group_barrier mask(0x00000100) size(1) SyncID(0)
	s_waitcnt vmcnt(0)
	v_wmma_f32_16x16x16_f16 v[225:232], v[19:26], v[9:16], v[225:232]
	s_clause 0x1
	scratch_load_b128 v[19:22], off, off offset:160
	scratch_load_b128 v[23:26], off, off offset:176
	ds_load_b128 v[45:48], v50 offset:2048
	s_waitcnt lgkmcnt(0)
	s_clause 0x1
	scratch_store_b128 off, v[41:44], off offset:256
	scratch_store_b128 off, v[45:48], off offset:272
	; sched_group_barrier mask(0x00000008) size(1) SyncID(0)
	; sched_group_barrier mask(0x00000100) size(1) SyncID(0)
	s_waitcnt vmcnt(0)
	v_wmma_f32_16x16x16_f16 v[185:192], v[19:26], v[9:16], v[185:192]
	s_clause 0x2
	scratch_load_b128 v[21:24], off, off offset:32
	scratch_load_b32 v19, off, off offset:596
	scratch_load_b128 v[25:28], off, off offset:48
	ds_load_b128 v[41:44], v49 offset:4096
	v_wmma_f32_16x16x16_f16 v[161:168], v[177:184], v[9:16], v[161:168]
	ds_load_b128 v[177:180], v193 offset:6144
	ds_load_b128 v[181:184], v194 offset:6144
	; sched_group_barrier mask(0x00000008) size(1) SyncID(0)
	; sched_group_barrier mask(0x00000100) size(1) SyncID(0)
	;; [unrolled: 1-line block ×3, first 2 shown]
	s_waitcnt vmcnt(1)
	ds_load_b64 v[19:20], v19 offset:16384
	s_waitcnt vmcnt(0)
	v_wmma_f32_16x16x16_f16 v[97:104], v[21:28], v[9:16], v[97:104]
	s_clause 0x2
	scratch_load_b128 v[23:26], off, off offset:128
	scratch_load_b32 v21, off, off offset:604
	scratch_load_b128 v[27:30], off, off offset:144
	; sched_group_barrier mask(0x00000100) size(1) SyncID(0)
	; sched_group_barrier mask(0x00000008) size(1) SyncID(0)
	s_waitcnt vmcnt(1)
	ds_load_b64 v[21:22], v21 offset:16384
	s_waitcnt vmcnt(0)
	v_wmma_f32_16x16x16_f16 v[81:88], v[23:30], v[9:16], v[81:88]
	s_clause 0x1
	scratch_load_b128 v[23:26], off, off offset:96
	scratch_load_b128 v[27:30], off, off offset:112
	ds_load_b128 v[45:48], v50 offset:4096
	s_waitcnt lgkmcnt(0)
	s_clause 0x1
	scratch_store_b128 off, v[41:44], off offset:192
	scratch_store_b128 off, v[45:48], off offset:208
	; sched_group_barrier mask(0x00000100) size(1) SyncID(0)
	; sched_group_barrier mask(0x00000008) size(1) SyncID(0)
	;; [unrolled: 1-line block ×3, first 2 shown]
	s_waitcnt vmcnt(0)
	v_wmma_f32_16x16x16_f16 v[73:80], v[23:30], v[9:16], v[73:80]
	s_clause 0x1
	scratch_load_b128 v[23:26], off, off
	scratch_load_b128 v[27:30], off, off offset:16
	ds_load_b128 v[51:54], v49 offset:6144
	; sched_group_barrier mask(0x00000008) size(1) SyncID(0)
	; sched_group_barrier mask(0x00000100) size(1) SyncID(0)
	s_waitcnt vmcnt(0)
	v_wmma_f32_16x16x16_f16 v[33:40], v[23:30], v[9:16], v[33:40]
	v_add_nc_u32_e64 v9, 2, s27
	v_and_or_b32 v11, v17, s10, 0x64006400
	v_ashrrev_i32_e32 v13, 8, v17
	v_and_or_b32 v14, v18, s10, 0x64006400
	v_and_or_b32 v15, v18, s23, 0x64006400
	v_sub_nc_u32_e32 v10, v9, v175
	v_sub_nc_u32_e32 v9, v202, v9
	v_pk_add_f16 v11, 0xe408, v11 op_sel_hi:[0,1]
	v_ashrrev_i32_e32 v16, 8, v18
	v_and_or_b32 v12, v17, s23, 0x64006400
	v_mul_lo_u32 v10, v10, s22
	v_mul_lo_u32 v9, v9, s22
	v_pk_mul_f16 v233, v255, v11 op_sel_hi:[0,1]
	v_and_or_b32 v11, v13, s10, 0x64006400
	v_and_or_b32 v17, v19, s10, 0x64006400
	;; [unrolled: 1-line block ×3, first 2 shown]
	v_ashrrev_i32_e32 v19, 8, v19
	v_and_or_b32 v23, v20, s10, 0x64006400
	v_pk_add_f16 v11, 0xe408, v11 op_sel_hi:[0,1]
	v_add3_u32 v195, v10, v173, v9
	scratch_load_b32 v9, off, off offset:580 ; 4-byte Folded Reload
	v_and_or_b32 v24, v20, s23, 0x64006400
	v_ashrrev_i32_e32 v20, 8, v20
	v_pk_mul_f16 v235, v255, v11 op_sel_hi:[0,1]
	v_and_or_b32 v11, v13, s23, 0x64006400
	v_pk_fma_f16 v12, v12, s28, 0xd480 op_sel_hi:[1,0,0]
	v_and_or_b32 v25, v21, s10, 0x64006400
	v_and_or_b32 v26, v21, s23, 0x64006400
	v_ashrrev_i32_e32 v21, 8, v21
	v_pk_fma_f16 v11, v11, s28, 0xd480 op_sel_hi:[1,0,0]
	v_and_or_b32 v27, v22, s10, 0x64006400
	v_and_or_b32 v28, v22, s23, 0x64006400
	v_ashrrev_i32_e32 v22, 8, v22
	v_pk_mul_f16 v234, v255, v12 op_sel_hi:[0,1]
	v_pk_mul_f16 v236, v255, v11 op_sel_hi:[0,1]
	v_pk_add_f16 v11, 0xe408, v14 op_sel_hi:[0,1]
	v_pk_add_f16 v13, 0xe408, v27 op_sel_hi:[0,1]
	v_pk_fma_f16 v14, v28, s28, 0xd480 op_sel_hi:[1,0,0]
	ds_load_b128 v[173:176], v194 offset:12288
	; sched_group_barrier mask(0x00000008) size(1) SyncID(0)
	v_pk_mul_f16 v237, v255, v11 op_sel_hi:[0,1]
	v_pk_fma_f16 v11, v15, s28, 0xd480 op_sel_hi:[1,0,0]
	v_and_or_b32 v15, v22, s10, 0x64006400
	v_pk_mul_f16 v13, v255, v13 op_sel_hi:[0,1]
	v_pk_mul_f16 v14, v255, v14 op_sel_hi:[0,1]
	s_delay_alu instid0(VALU_DEP_4) | instskip(SKIP_2) | instid1(VALU_DEP_2)
	v_pk_mul_f16 v238, v255, v11 op_sel_hi:[0,1]
	v_and_or_b32 v11, v16, s10, 0x64006400
	v_pk_add_f16 v15, 0xe408, v15 op_sel_hi:[0,1]
	v_pk_add_f16 v11, 0xe408, v11 op_sel_hi:[0,1]
	s_delay_alu instid0(VALU_DEP_2) | instskip(NEXT) | instid1(VALU_DEP_2)
	v_pk_mul_f16 v15, v255, v15 op_sel_hi:[0,1]
	v_pk_mul_f16 v239, v255, v11 op_sel_hi:[0,1]
	v_and_or_b32 v11, v16, s23, 0x64006400
	v_and_or_b32 v16, v22, s23, 0x64006400
	s_delay_alu instid0(VALU_DEP_2) | instskip(NEXT) | instid1(VALU_DEP_2)
	v_pk_fma_f16 v11, v11, s28, 0xd480 op_sel_hi:[1,0,0]
	v_pk_fma_f16 v16, v16, s28, 0xd480 op_sel_hi:[1,0,0]
	s_delay_alu instid0(VALU_DEP_2) | instskip(NEXT) | instid1(VALU_DEP_2)
	v_pk_mul_f16 v240, v255, v11 op_sel_hi:[0,1]
	v_pk_mul_f16 v16, v255, v16 op_sel_hi:[0,1]
	s_waitcnt vmcnt(0)
	ds_load_b64 v[9:10], v9 offset:16384
	ds_load_b128 v[55:58], v50 offset:6144
	s_waitcnt lgkmcnt(0)
	s_clause 0x1
	scratch_store_b128 off, v[51:54], off offset:448
	scratch_store_b128 off, v[55:58], off offset:464
	ds_load_b128 v[89:92], v49 offset:8192
	ds_load_b128 v[93:96], v50 offset:8192
	;; [unrolled: 1-line block ×6, first 2 shown]
	ds_load_b128 v[53:56], v170
	; sched_group_barrier mask(0x00000100) size(1) SyncID(0)
	; sched_group_barrier mask(0x00000008) size(1) SyncID(0)
	;; [unrolled: 1-line block ×14, first 2 shown]
	v_and_or_b32 v29, v9, s10, 0x64006400
	v_and_or_b32 v30, v9, s23, 0x64006400
	v_ashrrev_i32_e32 v9, 8, v9
	v_and_or_b32 v31, v10, s10, 0x64006400
	v_and_or_b32 v32, v10, s23, 0x64006400
	v_pk_add_f16 v11, 0xe408, v29 op_sel_hi:[0,1]
	v_ashrrev_i32_e32 v10, 8, v10
	v_pk_fma_f16 v12, v30, s28, 0xd480 op_sel_hi:[1,0,0]
	s_delay_alu instid0(VALU_DEP_3) | instskip(SKIP_2) | instid1(VALU_DEP_4)
	v_pk_mul_f16 v129, v255, v11 op_sel_hi:[0,1]
	v_and_or_b32 v11, v9, s10, 0x64006400
	v_and_or_b32 v9, v9, s23, 0x64006400
	v_pk_mul_f16 v130, v255, v12 op_sel_hi:[0,1]
	v_and_or_b32 v12, v21, s23, 0x64006400
	s_delay_alu instid0(VALU_DEP_4) | instskip(NEXT) | instid1(VALU_DEP_4)
	v_pk_add_f16 v11, 0xe408, v11 op_sel_hi:[0,1]
	v_pk_fma_f16 v9, v9, s28, 0xd480 op_sel_hi:[1,0,0]
	s_delay_alu instid0(VALU_DEP_3) | instskip(NEXT) | instid1(VALU_DEP_3)
	v_pk_fma_f16 v12, v12, s28, 0xd480 op_sel_hi:[1,0,0]
	v_pk_mul_f16 v131, v255, v11 op_sel_hi:[0,1]
	s_delay_alu instid0(VALU_DEP_3) | instskip(SKIP_3) | instid1(VALU_DEP_3)
	v_pk_mul_f16 v132, v255, v9 op_sel_hi:[0,1]
	v_pk_add_f16 v9, 0xe408, v31 op_sel_hi:[0,1]
	v_and_or_b32 v11, v21, s10, 0x64006400
	v_pk_mul_f16 v12, v255, v12 op_sel_hi:[0,1]
	v_pk_mul_f16 v133, v255, v9 op_sel_hi:[0,1]
	v_pk_fma_f16 v9, v32, s28, 0xd480 op_sel_hi:[1,0,0]
	ds_load_b128 v[29:32], v170 offset:2048
	v_pk_add_f16 v11, 0xe408, v11 op_sel_hi:[0,1]
	v_pk_mul_f16 v134, v255, v9 op_sel_hi:[0,1]
	v_and_or_b32 v9, v10, s10, 0x64006400
	s_delay_alu instid0(VALU_DEP_3) | instskip(NEXT) | instid1(VALU_DEP_2)
	v_pk_mul_f16 v11, v255, v11 op_sel_hi:[0,1]
	v_pk_add_f16 v9, 0xe408, v9 op_sel_hi:[0,1]
	s_delay_alu instid0(VALU_DEP_1) | instskip(SKIP_2) | instid1(VALU_DEP_2)
	v_pk_mul_f16 v135, v255, v9 op_sel_hi:[0,1]
	v_and_or_b32 v9, v10, s23, 0x64006400
	v_pk_fma_f16 v10, v18, s28, 0xd480 op_sel_hi:[1,0,0]
	v_pk_fma_f16 v9, v9, s28, 0xd480 op_sel_hi:[1,0,0]
	s_delay_alu instid0(VALU_DEP_2) | instskip(SKIP_1) | instid1(VALU_DEP_3)
	v_pk_mul_f16 v42, v255, v10 op_sel_hi:[0,1]
	v_pk_fma_f16 v10, v26, s28, 0xd480 op_sel_hi:[1,0,0]
	v_pk_mul_f16 v136, v255, v9 op_sel_hi:[0,1]
	v_pk_add_f16 v9, 0xe408, v17 op_sel_hi:[0,1]
	s_delay_alu instid0(VALU_DEP_3) | instskip(NEXT) | instid1(VALU_DEP_2)
	v_pk_mul_f16 v10, v255, v10 op_sel_hi:[0,1]
	v_pk_mul_f16 v41, v255, v9 op_sel_hi:[0,1]
	v_and_or_b32 v9, v19, s10, 0x64006400
	s_delay_alu instid0(VALU_DEP_1) | instskip(NEXT) | instid1(VALU_DEP_1)
	v_pk_add_f16 v9, 0xe408, v9 op_sel_hi:[0,1]
	v_pk_mul_f16 v43, v255, v9 op_sel_hi:[0,1]
	v_and_or_b32 v9, v19, s23, 0x64006400
	s_delay_alu instid0(VALU_DEP_1) | instskip(NEXT) | instid1(VALU_DEP_1)
	v_pk_fma_f16 v9, v9, s28, 0xd480 op_sel_hi:[1,0,0]
	v_pk_mul_f16 v44, v255, v9 op_sel_hi:[0,1]
	v_pk_add_f16 v9, 0xe408, v23 op_sel_hi:[0,1]
	s_delay_alu instid0(VALU_DEP_1) | instskip(SKIP_4) | instid1(VALU_DEP_1)
	v_pk_mul_f16 v45, v255, v9 op_sel_hi:[0,1]
	v_pk_fma_f16 v9, v24, s28, 0xd480 op_sel_hi:[1,0,0]
	ds_load_b128 v[21:24], v50 offset:14336
	v_pk_mul_f16 v46, v255, v9 op_sel_hi:[0,1]
	v_and_or_b32 v9, v20, s10, 0x64006400
	v_pk_add_f16 v9, 0xe408, v9 op_sel_hi:[0,1]
	s_delay_alu instid0(VALU_DEP_1) | instskip(SKIP_4) | instid1(VALU_DEP_1)
	v_pk_mul_f16 v47, v255, v9 op_sel_hi:[0,1]
	v_and_or_b32 v9, v20, s23, 0x64006400
	ds_load_b128 v[17:20], v49 offset:14336
	ds_load_b128 v[49:52], v169
	v_pk_fma_f16 v9, v9, s28, 0xd480 op_sel_hi:[1,0,0]
	v_pk_mul_f16 v48, v255, v9 op_sel_hi:[0,1]
	v_pk_add_f16 v9, 0xe408, v25 op_sel_hi:[0,1]
	ds_load_b128 v[25:28], v169 offset:2048
	v_pk_mul_f16 v9, v255, v9 op_sel_hi:[0,1]
	s_waitcnt lgkmcnt(2)
	s_clause 0x1
	scratch_store_b128 off, v[17:20], off offset:320
	scratch_store_b128 off, v[21:24], off offset:336
	ds_load_b128 v[17:20], v169 offset:12288
	ds_load_b128 v[21:24], v170 offset:12288
	s_waitcnt lgkmcnt(0)
	s_clause 0x1
	scratch_store_b128 off, v[17:20], off offset:416
	scratch_store_b128 off, v[21:24], off offset:432
	ds_load_b128 v[17:20], v169 offset:14336
	ds_load_b128 v[21:24], v170 offset:14336
	s_waitcnt lgkmcnt(0)
	s_clause 0x1
	scratch_store_b128 off, v[17:20], off offset:384
	scratch_store_b128 off, v[21:24], off offset:400
	ds_load_b128 v[17:20], v193
	ds_load_b128 v[21:24], v194
	s_waitcnt lgkmcnt(0)
	s_clause 0x1
	scratch_store_b128 off, v[17:20], off offset:64
	scratch_store_b128 off, v[21:24], off offset:80
	ds_load_b128 v[17:20], v193 offset:2048
	ds_load_b128 v[21:24], v194 offset:2048
	s_waitcnt lgkmcnt(0)
	s_clause 0x1
	scratch_store_b128 off, v[17:20], off offset:224
	scratch_store_b128 off, v[21:24], off offset:240
	ds_load_b128 v[17:20], v193 offset:4096
	ds_load_b128 v[21:24], v194 offset:4096
	;; [unrolled: 6-line block ×5, first 2 shown]
	ds_load_b128 v[169:172], v193 offset:12288
	s_waitcnt lgkmcnt(0)
	s_clause 0x1
	scratch_store_b128 off, v[169:172], off offset:96
	scratch_store_b128 off, v[173:176], off offset:112
	ds_load_b128 v[169:172], v193 offset:14336
	ds_load_b128 v[173:176], v194 offset:14336
	s_waitcnt lgkmcnt(0)
	s_clause 0x1
	scratch_store_b128 off, v[169:172], off
	scratch_store_b128 off, v[173:176], off offset:16
	s_clause 0x1
	scratch_load_b32 v169, off, off offset:620
	scratch_load_b32 v170, off, off offset:624
	v_dual_mov_b32 v175, v202 :: v_dual_mov_b32 v174, v201
	scratch_load_b128 v[201:204], off, off offset:552 ; 16-byte Folded Reload
	v_mov_b32_e32 v173, v195
	s_waitcnt vmcnt(1)
	v_add3_u32 v255, v170, v196, v169
	v_add_nc_u32_e32 v169, 64, v200
	s_delay_alu instid0(VALU_DEP_1)
	v_add3_u32 v196, v169, v255, v0
	; sched_barrier mask(0x00000000)
	v_add_nc_u32_e32 v251, 1, v251
	v_add_nc_u32_e32 v252, 1, v252
	;; [unrolled: 1-line block ×6, first 2 shown]
	s_add_i32 s27, s27, 1
	s_add_i32 s29, s29, 64
	s_cmp_lg_u32 s7, s27
	scratch_store_b32 off, v252, off offset:512 ; 4-byte Folded Spill
	s_cbranch_scc1 .LBB4_12
; %bb.13:
	v_wmma_f32_16x16x16_f16 v[81:88], v[105:112], v[233:240], v[81:88]
	s_clause 0x1
	scratch_load_b128 v[105:108], off, off offset:352
	scratch_load_b128 v[109:112], off, off offset:368
	v_wmma_f32_16x16x16_f16 v[1:8], v[153:160], v[233:240], v[1:8]
	v_wmma_f32_16x16x16_f16 v[225:232], v[145:152], v[233:240], v[225:232]
	;; [unrolled: 1-line block ×6, first 2 shown]
	s_lshl_b64 s[0:1], s[24:25], 1
	s_mul_i32 s11, s11, s9
	v_wmma_f32_16x16x16_f16 v[97:104], v[89:96], v[129:136], v[97:104]
	v_wmma_f32_16x16x16_f16 v[81:88], v[209:216], v[41:48], v[81:88]
	s_add_u32 s12, s20, s0
	s_mul_hi_u32 s0, s6, s9
	s_addc_u32 s13, s21, s1
	v_wmma_f32_16x16x16_f16 v[97:104], v[217:224], v[41:48], v[97:104]
	s_add_i32 s2, s0, s11
	s_waitcnt vmcnt(0)
	v_wmma_f32_16x16x16_f16 v[73:80], v[105:112], v[233:240], v[73:80]
	s_clause 0x1
	scratch_load_b128 v[105:108], off, off offset:288
	scratch_load_b128 v[109:112], off, off offset:304
	v_wmma_f32_16x16x16_f16 v[73:80], v[57:64], v[129:136], v[73:80]
	s_waitcnt vmcnt(0)
	v_wmma_f32_16x16x16_f16 v[33:40], v[105:112], v[233:240], v[33:40]
	s_clause 0x1
	scratch_load_b128 v[105:108], off, off offset:480
	scratch_load_b128 v[109:112], off, off offset:496
	s_waitcnt vmcnt(0)
	v_wmma_f32_16x16x16_f16 v[1:8], v[105:112], v[129:136], v[1:8]
	s_clause 0x1
	scratch_load_b128 v[105:108], off, off offset:256
	scratch_load_b128 v[109:112], off, off offset:272
	v_wmma_f32_16x16x16_f16 v[1:8], v[49:56], v[41:48], v[1:8]
	s_waitcnt vmcnt(0)
	v_wmma_f32_16x16x16_f16 v[225:232], v[105:112], v[129:136], v[225:232]
	s_clause 0x1
	scratch_load_b128 v[105:108], off, off offset:192
	scratch_load_b128 v[109:112], off, off offset:208
	v_wmma_f32_16x16x16_f16 v[225:232], v[25:32], v[41:48], v[225:232]
	s_waitcnt vmcnt(0)
	v_wmma_f32_16x16x16_f16 v[185:192], v[105:112], v[129:136], v[185:192]
	s_clause 0x3
	scratch_load_b128 v[105:108], off, off offset:448
	scratch_load_b128 v[109:112], off, off offset:464
	;; [unrolled: 1-line block ×4, first 2 shown]
	v_wmma_f32_16x16x16_f16 v[185:192], v[17:24], v[41:48], v[185:192]
	s_clause 0x1
	scratch_load_b128 v[17:20], off, off offset:416
	scratch_load_b128 v[21:24], off, off offset:432
	s_waitcnt vmcnt(4)
	v_wmma_f32_16x16x16_f16 v[161:168], v[105:112], v[129:136], v[161:168]
	s_waitcnt vmcnt(2)
	v_wmma_f32_16x16x16_f16 v[33:40], v[57:64], v[129:136], v[33:40]
	;; [unrolled: 2-line block ×3, first 2 shown]
	s_clause 0x1
	scratch_load_b128 v[17:20], off, off offset:384
	scratch_load_b128 v[21:24], off, off offset:400
	v_wmma_f32_16x16x16_f16 v[161:168], v[241:248], v[41:48], v[161:168]
	s_delay_alu instid0(VALU_DEP_1)
	v_wmma_f32_16x16x16_f16 v[161:168], v[177:184], v[9:16], v[161:168]
	s_waitcnt vmcnt(0)
	v_wmma_f32_16x16x16_f16 v[33:40], v[17:24], v[41:48], v[33:40]
	s_clause 0x1
	scratch_load_b128 v[17:20], off, off offset:64
	scratch_load_b128 v[21:24], off, off offset:80
	s_waitcnt vmcnt(0)
	v_wmma_f32_16x16x16_f16 v[1:8], v[17:24], v[9:16], v[1:8]
	s_clause 0x1
	scratch_load_b128 v[17:20], off, off offset:224
	scratch_load_b128 v[21:24], off, off offset:240
	;; [unrolled: 5-line block ×6, first 2 shown]
	s_waitcnt vmcnt(0)
	v_wmma_f32_16x16x16_f16 v[73:80], v[17:24], v[9:16], v[73:80]
	s_clause 0x1
	scratch_load_b128 v[17:20], off, off
	scratch_load_b128 v[21:24], off, off offset:16
	s_waitcnt vmcnt(0)
	v_wmma_f32_16x16x16_f16 v[33:40], v[17:24], v[9:16], v[33:40]
	; sched_barrier mask(0x00000000)
	s_clause 0x1
	scratch_load_b32 v9, off, off offset:644
	scratch_load_b32 v10, off, off offset:652
	s_waitcnt lgkmcnt(0)
	scratch_load_b32 v12, off, off offset:648 ; 4-byte Folded Reload
	v_cvt_f16_f32_e32 v1, v1
	v_cvt_f16_f32_e32 v2, v2
	v_cvt_f16_f32_e32 v3, v3
	v_cvt_f16_f32_e32 v4, v4
	v_cvt_f16_f32_e32 v5, v5
	s_waitcnt vmcnt(0)
	s_waitcnt_vscnt null, 0x0
	s_barrier
	v_cvt_f16_f32_e32 v6, v6
	v_cvt_f16_f32_e32 v7, v7
	;; [unrolled: 1-line block ×3, first 2 shown]
	s_mov_b32 s15, 0x31004000
	v_lshrrev_b32_e32 v0, 4, v9
	v_lshlrev_b32_e32 v9, 6, v9
	v_and_b32_e32 v10, 0x78, v10
	s_delay_alu instid0(VALU_DEP_3) | instskip(NEXT) | instid1(VALU_DEP_3)
	v_lshl_or_b32 v11, s26, 7, v0
	v_and_or_b32 v9, 0x400, v9, v12
	s_delay_alu instid0(VALU_DEP_3) | instskip(SKIP_1) | instid1(VALU_DEP_4)
	v_or_b32_e32 v12, s8, v10
	v_lshlrev_b32_e32 v10, 1, v10
	v_mul_lo_u32 v13, v11, s9
	s_delay_alu instid0(VALU_DEP_4) | instskip(NEXT) | instid1(VALU_DEP_4)
	v_lshlrev_b32_e32 v9, 1, v9
	v_cmp_gt_i32_e64 s0, s5, v12
	s_delay_alu instid0(VALU_DEP_4)
	v_lshl_or_b32 v10, v0, 8, v10
	v_cmp_gt_i32_e64 s1, s4, v11
	ds_store_b16 v9, v1
	ds_store_b16 v9, v2 offset:256
	ds_store_b16 v9, v3 offset:512
	;; [unrolled: 1-line block ×7, first 2 shown]
	v_or_b32_e32 v4, 4, v12
	s_waitcnt lgkmcnt(0)
	s_barrier
	ds_load_2addr_b64 v[0:3], v10 offset1:1
	s_and_b32 s3, s1, s0
	v_cmp_gt_i32_e32 vcc_lo, s5, v4
	v_add_lshl_u32 v4, v13, v12, 1
	v_cndmask_b32_e64 v5, 0x80000000, 0, s3
	v_cvt_f16_f32_e64 v7, v230
	v_cvt_f16_f32_e64 v8, v231
	s_and_b32 s1, s1, vcc_lo
	v_cvt_f16_f32_e64 v12, v232
	v_cndmask_b32_e64 v6, 0x80000000, 0, s1
	v_add_nc_u32_e32 v5, v5, v4
	s_add_i32 s1, s5, s2
	s_lshl_b32 s2, s9, 5
	s_lshl_b32 s14, s1, 1
	v_add_nc_u32_e32 v6, v4, v6
	v_add_nc_u32_e32 v4, s2, v4
	s_waitcnt lgkmcnt(0)
	s_clause 0x1
	buffer_store_b64 v[0:1], v5, s[12:15], 0 offen
	buffer_store_b64 v[2:3], v6, s[12:15], 0 offen offset:8
	v_cvt_f16_f32_e64 v0, v225
	v_cvt_f16_f32_e64 v1, v226
	;; [unrolled: 1-line block ×3, first 2 shown]
	v_or_b32_e32 v5, 16, v11
	v_cvt_f16_f32_e64 v3, v228
	v_cvt_f16_f32_e64 v6, v229
	s_waitcnt lgkmcnt(0)
	s_waitcnt_vscnt null, 0x0
	s_barrier
	ds_store_b16 v9, v0
	ds_store_b16 v9, v1 offset:256
	ds_store_b16 v9, v2 offset:512
	;; [unrolled: 1-line block ×7, first 2 shown]
	s_waitcnt lgkmcnt(0)
	s_barrier
	ds_load_2addr_b64 v[0:3], v10 offset1:1
	v_cmp_gt_i32_e64 s1, s4, v5
	v_cvt_f16_f32_e64 v7, v190
	v_cvt_f16_f32_e64 v8, v191
	;; [unrolled: 1-line block ×3, first 2 shown]
	s_delay_alu instid0(VALU_DEP_4) | instskip(SKIP_3) | instid1(VALU_DEP_2)
	s_and_b32 s3, s0, s1
	s_and_b32 s1, s1, vcc_lo
	v_cndmask_b32_e64 v5, 0x80000000, 0, s3
	v_cndmask_b32_e64 v6, 0x80000000, 0, s1
	v_add_nc_u32_e32 v5, v5, v4
	s_delay_alu instid0(VALU_DEP_2)
	v_add_nc_u32_e32 v6, v4, v6
	s_waitcnt lgkmcnt(0)
	s_clause 0x1
	buffer_store_b64 v[0:1], v5, s[12:15], 0 offen
	buffer_store_b64 v[2:3], v6, s[12:15], 0 offen offset:8
	v_cvt_f16_f32_e64 v0, v185
	v_cvt_f16_f32_e64 v1, v186
	;; [unrolled: 1-line block ×3, first 2 shown]
	v_or_b32_e32 v5, 32, v11
	v_cvt_f16_f32_e64 v3, v188
	v_cvt_f16_f32_e64 v6, v189
	s_waitcnt lgkmcnt(0)
	s_waitcnt_vscnt null, 0x0
	s_barrier
	ds_store_b16 v9, v0
	ds_store_b16 v9, v1 offset:256
	ds_store_b16 v9, v2 offset:512
	;; [unrolled: 1-line block ×7, first 2 shown]
	s_waitcnt lgkmcnt(0)
	s_barrier
	ds_load_2addr_b64 v[0:3], v10 offset1:1
	v_cmp_gt_i32_e64 s1, s4, v5
	v_add_nc_u32_e32 v4, s2, v4
	v_cvt_f16_f32_e64 v7, v166
	v_cvt_f16_f32_e64 v8, v167
	v_cvt_f16_f32_e64 v12, v168
	s_and_b32 s3, s0, s1
	s_and_b32 s1, s1, vcc_lo
	v_cndmask_b32_e64 v5, 0x80000000, 0, s3
	v_cndmask_b32_e64 v6, 0x80000000, 0, s1
	s_delay_alu instid0(VALU_DEP_2) | instskip(NEXT) | instid1(VALU_DEP_2)
	v_add_nc_u32_e32 v5, v5, v4
	v_add_nc_u32_e32 v6, v4, v6
	s_waitcnt lgkmcnt(0)
	s_clause 0x1
	buffer_store_b64 v[0:1], v5, s[12:15], 0 offen
	buffer_store_b64 v[2:3], v6, s[12:15], 0 offen offset:8
	v_cvt_f16_f32_e64 v0, v161
	v_cvt_f16_f32_e64 v1, v162
	;; [unrolled: 1-line block ×3, first 2 shown]
	v_or_b32_e32 v5, 48, v11
	v_cvt_f16_f32_e64 v3, v164
	v_cvt_f16_f32_e64 v6, v165
	s_waitcnt lgkmcnt(0)
	s_waitcnt_vscnt null, 0x0
	s_barrier
	ds_store_b16 v9, v0
	ds_store_b16 v9, v1 offset:256
	ds_store_b16 v9, v2 offset:512
	ds_store_b16 v9, v3 offset:768
	ds_store_b16 v9, v6 offset:1024
	ds_store_b16 v9, v7 offset:1280
	ds_store_b16 v9, v8 offset:1536
	ds_store_b16 v9, v12 offset:1792
	s_waitcnt lgkmcnt(0)
	s_barrier
	ds_load_2addr_b64 v[0:3], v10 offset1:1
	v_cmp_gt_i32_e64 s1, s4, v5
	v_add_nc_u32_e32 v4, s2, v4
	v_cvt_f16_f32_e32 v7, v102
	v_cvt_f16_f32_e32 v8, v103
	v_cvt_f16_f32_e32 v12, v104
	s_and_b32 s3, s0, s1
	s_and_b32 s1, s1, vcc_lo
	v_cndmask_b32_e64 v5, 0x80000000, 0, s3
	v_cndmask_b32_e64 v6, 0x80000000, 0, s1
	s_delay_alu instid0(VALU_DEP_2) | instskip(NEXT) | instid1(VALU_DEP_2)
	v_add_nc_u32_e32 v5, v5, v4
	v_add_nc_u32_e32 v6, v4, v6
	s_waitcnt lgkmcnt(0)
	s_clause 0x1
	buffer_store_b64 v[0:1], v5, s[12:15], 0 offen
	buffer_store_b64 v[2:3], v6, s[12:15], 0 offen offset:8
	v_cvt_f16_f32_e32 v0, v97
	v_cvt_f16_f32_e32 v1, v98
	v_cvt_f16_f32_e32 v2, v99
	v_or_b32_e32 v5, 64, v11
	v_cvt_f16_f32_e32 v3, v100
	v_cvt_f16_f32_e32 v6, v101
	s_waitcnt lgkmcnt(0)
	s_waitcnt_vscnt null, 0x0
	s_barrier
	ds_store_b16 v9, v0
	ds_store_b16 v9, v1 offset:256
	ds_store_b16 v9, v2 offset:512
	ds_store_b16 v9, v3 offset:768
	ds_store_b16 v9, v6 offset:1024
	ds_store_b16 v9, v7 offset:1280
	ds_store_b16 v9, v8 offset:1536
	ds_store_b16 v9, v12 offset:1792
	s_waitcnt lgkmcnt(0)
	s_barrier
	ds_load_2addr_b64 v[0:3], v10 offset1:1
	v_cmp_gt_i32_e64 s1, s4, v5
	v_add_nc_u32_e32 v4, s2, v4
	v_cvt_f16_f32_e32 v7, v86
	v_cvt_f16_f32_e32 v8, v87
	v_cvt_f16_f32_e32 v12, v88
	s_and_b32 s3, s0, s1
	s_and_b32 s1, s1, vcc_lo
	v_cndmask_b32_e64 v5, 0x80000000, 0, s3
	v_cndmask_b32_e64 v6, 0x80000000, 0, s1
	s_delay_alu instid0(VALU_DEP_2) | instskip(NEXT) | instid1(VALU_DEP_2)
	v_add_nc_u32_e32 v5, v5, v4
	v_add_nc_u32_e32 v6, v4, v6
	s_waitcnt lgkmcnt(0)
	s_clause 0x1
	buffer_store_b64 v[0:1], v5, s[12:15], 0 offen
	buffer_store_b64 v[2:3], v6, s[12:15], 0 offen offset:8
	v_cvt_f16_f32_e32 v0, v81
	v_cvt_f16_f32_e32 v1, v82
	v_cvt_f16_f32_e32 v2, v83
	v_or_b32_e32 v5, 0x50, v11
	v_cvt_f16_f32_e32 v3, v84
	v_cvt_f16_f32_e32 v6, v85
	;; [unrolled: 36-line block ×3, first 2 shown]
	s_waitcnt lgkmcnt(0)
	s_waitcnt_vscnt null, 0x0
	s_barrier
	ds_store_b16 v9, v0
	ds_store_b16 v9, v1 offset:256
	ds_store_b16 v9, v2 offset:512
	;; [unrolled: 1-line block ×7, first 2 shown]
	s_waitcnt lgkmcnt(0)
	s_barrier
	ds_load_2addr_b64 v[0:3], v10 offset1:1
	v_cmp_gt_i32_e64 s1, s4, v5
	v_add_nc_u32_e32 v4, s2, v4
	v_cvt_f16_f32_e32 v7, v38
	v_cvt_f16_f32_e32 v8, v39
	s_delay_alu instid0(VALU_DEP_4) | instskip(SKIP_3) | instid1(VALU_DEP_2)
	s_and_b32 s3, s0, s1
	s_and_b32 s1, s1, vcc_lo
	v_cndmask_b32_e64 v5, 0x80000000, 0, s3
	v_cndmask_b32_e64 v6, 0x80000000, 0, s1
	v_add_nc_u32_e32 v5, v5, v4
	s_delay_alu instid0(VALU_DEP_2)
	v_add_nc_u32_e32 v6, v4, v6
	s_waitcnt lgkmcnt(0)
	s_clause 0x1
	buffer_store_b64 v[0:1], v5, s[12:15], 0 offen
	buffer_store_b64 v[2:3], v6, s[12:15], 0 offen offset:8
	v_cvt_f16_f32_e32 v0, v33
	v_cvt_f16_f32_e32 v1, v34
	v_or_b32_e32 v5, 0x70, v11
	v_cvt_f16_f32_e32 v2, v35
	v_cvt_f16_f32_e32 v3, v36
	;; [unrolled: 1-line block ×3, first 2 shown]
	s_waitcnt lgkmcnt(0)
	s_waitcnt_vscnt null, 0x0
	s_barrier
	v_cvt_f16_f32_e32 v11, v40
	ds_store_b16 v9, v0
	ds_store_b16 v9, v1 offset:256
	ds_store_b16 v9, v2 offset:512
	;; [unrolled: 1-line block ×7, first 2 shown]
	s_waitcnt lgkmcnt(0)
	s_barrier
	ds_load_2addr_b64 v[0:3], v10 offset1:1
	v_cmp_gt_i32_e64 s1, s4, v5
	v_add_nc_u32_e32 v4, s2, v4
	s_delay_alu instid0(VALU_DEP_2) | instskip(NEXT) | instid1(SALU_CYCLE_1)
	s_and_b32 s0, s0, s1
	v_cndmask_b32_e64 v5, 0x80000000, 0, s0
	s_and_b32 s0, s1, vcc_lo
	s_delay_alu instid0(SALU_CYCLE_1) | instskip(NEXT) | instid1(VALU_DEP_2)
	v_cndmask_b32_e64 v6, 0x80000000, 0, s0
	v_add_nc_u32_e32 v5, v5, v4
	s_delay_alu instid0(VALU_DEP_2)
	v_add_nc_u32_e32 v4, v4, v6
	s_waitcnt lgkmcnt(0)
	s_clause 0x1
	buffer_store_b64 v[0:1], v5, s[12:15], 0 offen
	buffer_store_b64 v[2:3], v4, s[12:15], 0 offen offset:8
	s_nop 0
	s_sendmsg sendmsg(MSG_DEALLOC_VGPRS)
	s_endpgm
	.section	.rodata,"a",@progbits
	.p2align	6, 0x0
	.amdhsa_kernel _ZN2ck27kernel_gemm_xdl_cshuffle_v3INS_28GridwiseGemm_xdl_cshuffle_v3INS_13tensor_layout4gemm8RowMajorENS3_11ColumnMajorES4_DF16_NS_7pk_i4_tEfDF16_DF16_NS_16tensor_operation12element_wise11PassThroughES9_S9_LNS7_6device18GemmSpecializationE0ELi256ELi1ELi128ELi128ELi128ELi64ELi8ELi16ELi16ELi16ELi8ELi1ENS_8SequenceIJLi8ELi32ELi1EEEENSC_IJLi1ELi0ELi2EEEESE_Li2ELi8ELi8ELb0ELi0ENSC_IJLi2ELi128ELi1EEEESE_SE_Li2ELi16ELi16ELb0ELi0ELi1ELi1ENSC_IJLi1ELi16ELi1ELi16EEEELi4ELNS_26BlockGemmPipelineSchedulerE0ELNS_24BlockGemmPipelineVersionE2EDF16_DF16_Lb0ELb1EEELb1ELNS_25InMemoryDataOperationEnumE0ELi2ELNS_10TailNumberE10EEEvNT_8ArgumentE
		.amdhsa_group_segment_fixed_size 20480
		.amdhsa_private_segment_fixed_size 660
		.amdhsa_kernarg_size 120
		.amdhsa_user_sgpr_count 14
		.amdhsa_user_sgpr_dispatch_ptr 0
		.amdhsa_user_sgpr_queue_ptr 0
		.amdhsa_user_sgpr_kernarg_segment_ptr 1
		.amdhsa_user_sgpr_dispatch_id 0
		.amdhsa_user_sgpr_private_segment_size 0
		.amdhsa_wavefront_size32 1
		.amdhsa_uses_dynamic_stack 0
		.amdhsa_enable_private_segment 1
		.amdhsa_system_sgpr_workgroup_id_x 1
		.amdhsa_system_sgpr_workgroup_id_y 0
		.amdhsa_system_sgpr_workgroup_id_z 1
		.amdhsa_system_sgpr_workgroup_info 0
		.amdhsa_system_vgpr_workitem_id 0
		.amdhsa_next_free_vgpr 256
		.amdhsa_next_free_sgpr 32
		.amdhsa_reserve_vcc 1
		.amdhsa_float_round_mode_32 0
		.amdhsa_float_round_mode_16_64 0
		.amdhsa_float_denorm_mode_32 3
		.amdhsa_float_denorm_mode_16_64 3
		.amdhsa_dx10_clamp 1
		.amdhsa_ieee_mode 1
		.amdhsa_fp16_overflow 0
		.amdhsa_workgroup_processor_mode 1
		.amdhsa_memory_ordered 1
		.amdhsa_forward_progress 0
		.amdhsa_shared_vgpr_count 0
		.amdhsa_exception_fp_ieee_invalid_op 0
		.amdhsa_exception_fp_denorm_src 0
		.amdhsa_exception_fp_ieee_div_zero 0
		.amdhsa_exception_fp_ieee_overflow 0
		.amdhsa_exception_fp_ieee_underflow 0
		.amdhsa_exception_fp_ieee_inexact 0
		.amdhsa_exception_int_div_zero 0
	.end_amdhsa_kernel
	.section	.text._ZN2ck27kernel_gemm_xdl_cshuffle_v3INS_28GridwiseGemm_xdl_cshuffle_v3INS_13tensor_layout4gemm8RowMajorENS3_11ColumnMajorES4_DF16_NS_7pk_i4_tEfDF16_DF16_NS_16tensor_operation12element_wise11PassThroughES9_S9_LNS7_6device18GemmSpecializationE0ELi256ELi1ELi128ELi128ELi128ELi64ELi8ELi16ELi16ELi16ELi8ELi1ENS_8SequenceIJLi8ELi32ELi1EEEENSC_IJLi1ELi0ELi2EEEESE_Li2ELi8ELi8ELb0ELi0ENSC_IJLi2ELi128ELi1EEEESE_SE_Li2ELi16ELi16ELb0ELi0ELi1ELi1ENSC_IJLi1ELi16ELi1ELi16EEEELi4ELNS_26BlockGemmPipelineSchedulerE0ELNS_24BlockGemmPipelineVersionE2EDF16_DF16_Lb0ELb1EEELb1ELNS_25InMemoryDataOperationEnumE0ELi2ELNS_10TailNumberE10EEEvNT_8ArgumentE,"axG",@progbits,_ZN2ck27kernel_gemm_xdl_cshuffle_v3INS_28GridwiseGemm_xdl_cshuffle_v3INS_13tensor_layout4gemm8RowMajorENS3_11ColumnMajorES4_DF16_NS_7pk_i4_tEfDF16_DF16_NS_16tensor_operation12element_wise11PassThroughES9_S9_LNS7_6device18GemmSpecializationE0ELi256ELi1ELi128ELi128ELi128ELi64ELi8ELi16ELi16ELi16ELi8ELi1ENS_8SequenceIJLi8ELi32ELi1EEEENSC_IJLi1ELi0ELi2EEEESE_Li2ELi8ELi8ELb0ELi0ENSC_IJLi2ELi128ELi1EEEESE_SE_Li2ELi16ELi16ELb0ELi0ELi1ELi1ENSC_IJLi1ELi16ELi1ELi16EEEELi4ELNS_26BlockGemmPipelineSchedulerE0ELNS_24BlockGemmPipelineVersionE2EDF16_DF16_Lb0ELb1EEELb1ELNS_25InMemoryDataOperationEnumE0ELi2ELNS_10TailNumberE10EEEvNT_8ArgumentE,comdat
.Lfunc_end4:
	.size	_ZN2ck27kernel_gemm_xdl_cshuffle_v3INS_28GridwiseGemm_xdl_cshuffle_v3INS_13tensor_layout4gemm8RowMajorENS3_11ColumnMajorES4_DF16_NS_7pk_i4_tEfDF16_DF16_NS_16tensor_operation12element_wise11PassThroughES9_S9_LNS7_6device18GemmSpecializationE0ELi256ELi1ELi128ELi128ELi128ELi64ELi8ELi16ELi16ELi16ELi8ELi1ENS_8SequenceIJLi8ELi32ELi1EEEENSC_IJLi1ELi0ELi2EEEESE_Li2ELi8ELi8ELb0ELi0ENSC_IJLi2ELi128ELi1EEEESE_SE_Li2ELi16ELi16ELb0ELi0ELi1ELi1ENSC_IJLi1ELi16ELi1ELi16EEEELi4ELNS_26BlockGemmPipelineSchedulerE0ELNS_24BlockGemmPipelineVersionE2EDF16_DF16_Lb0ELb1EEELb1ELNS_25InMemoryDataOperationEnumE0ELi2ELNS_10TailNumberE10EEEvNT_8ArgumentE, .Lfunc_end4-_ZN2ck27kernel_gemm_xdl_cshuffle_v3INS_28GridwiseGemm_xdl_cshuffle_v3INS_13tensor_layout4gemm8RowMajorENS3_11ColumnMajorES4_DF16_NS_7pk_i4_tEfDF16_DF16_NS_16tensor_operation12element_wise11PassThroughES9_S9_LNS7_6device18GemmSpecializationE0ELi256ELi1ELi128ELi128ELi128ELi64ELi8ELi16ELi16ELi16ELi8ELi1ENS_8SequenceIJLi8ELi32ELi1EEEENSC_IJLi1ELi0ELi2EEEESE_Li2ELi8ELi8ELb0ELi0ENSC_IJLi2ELi128ELi1EEEESE_SE_Li2ELi16ELi16ELb0ELi0ELi1ELi1ENSC_IJLi1ELi16ELi1ELi16EEEELi4ELNS_26BlockGemmPipelineSchedulerE0ELNS_24BlockGemmPipelineVersionE2EDF16_DF16_Lb0ELb1EEELb1ELNS_25InMemoryDataOperationEnumE0ELi2ELNS_10TailNumberE10EEEvNT_8ArgumentE
                                        ; -- End function
	.section	.AMDGPU.csdata,"",@progbits
; Kernel info:
; codeLenInByte = 10796
; NumSgprs: 34
; NumVgprs: 256
; ScratchSize: 660
; MemoryBound: 0
; FloatMode: 240
; IeeeMode: 1
; LDSByteSize: 20480 bytes/workgroup (compile time only)
; SGPRBlocks: 4
; VGPRBlocks: 31
; NumSGPRsForWavesPerEU: 34
; NumVGPRsForWavesPerEU: 256
; Occupancy: 5
; WaveLimiterHint : 0
; COMPUTE_PGM_RSRC2:SCRATCH_EN: 1
; COMPUTE_PGM_RSRC2:USER_SGPR: 14
; COMPUTE_PGM_RSRC2:TRAP_HANDLER: 0
; COMPUTE_PGM_RSRC2:TGID_X_EN: 1
; COMPUTE_PGM_RSRC2:TGID_Y_EN: 0
; COMPUTE_PGM_RSRC2:TGID_Z_EN: 1
; COMPUTE_PGM_RSRC2:TIDIG_COMP_CNT: 0
	.text
	.p2alignl 7, 3214868480
	.fill 96, 4, 3214868480
	.type	__hip_cuid_6ffe35edb90ce3fc,@object ; @__hip_cuid_6ffe35edb90ce3fc
	.section	.bss,"aw",@nobits
	.globl	__hip_cuid_6ffe35edb90ce3fc
__hip_cuid_6ffe35edb90ce3fc:
	.byte	0                               ; 0x0
	.size	__hip_cuid_6ffe35edb90ce3fc, 1

	.ident	"AMD clang version 19.0.0git (https://github.com/RadeonOpenCompute/llvm-project roc-6.4.0 25133 c7fe45cf4b819c5991fe208aaa96edf142730f1d)"
	.section	".note.GNU-stack","",@progbits
	.addrsig
	.addrsig_sym __hip_cuid_6ffe35edb90ce3fc
	.amdgpu_metadata
---
amdhsa.kernels:
  - .args:           []
    .group_segment_fixed_size: 0
    .kernarg_segment_align: 4
    .kernarg_segment_size: 0
    .language:       OpenCL C
    .language_version:
      - 2
      - 0
    .max_flat_workgroup_size: 1024
    .name:           _ZN2ckL12flush_icacheEv
    .private_segment_fixed_size: 0
    .sgpr_count:     0
    .sgpr_spill_count: 0
    .symbol:         _ZN2ckL12flush_icacheEv.kd
    .uniform_work_group_size: 1
    .uses_dynamic_stack: false
    .vgpr_count:     0
    .vgpr_spill_count: 0
    .wavefront_size: 32
    .workgroup_processor_mode: 1
  - .args:
      - .offset:         0
        .size:           120
        .value_kind:     by_value
    .group_segment_fixed_size: 0
    .kernarg_segment_align: 8
    .kernarg_segment_size: 120
    .language:       OpenCL C
    .language_version:
      - 2
      - 0
    .max_flat_workgroup_size: 256
    .name:           _ZN2ck27kernel_gemm_xdl_cshuffle_v3INS_28GridwiseGemm_xdl_cshuffle_v3INS_13tensor_layout4gemm8RowMajorENS3_11ColumnMajorES4_DF16_NS_7pk_i4_tEfDF16_DF16_NS_16tensor_operation12element_wise11PassThroughES9_S9_LNS7_6device18GemmSpecializationE0ELi256ELi1ELi128ELi128ELi128ELi64ELi8ELi16ELi16ELi16ELi8ELi2ENS_8SequenceIJLi8ELi32ELi1EEEENSC_IJLi1ELi0ELi2EEEESE_Li2ELi8ELi8ELb0ELi0ENSC_IJLi2ELi128ELi1EEEESE_SE_Li2ELi16ELi16ELb0ELi0ELi1ELi1ENSC_IJLi1ELi16ELi1ELi16EEEELi4ELNS_26BlockGemmPipelineSchedulerE0ELNS_24BlockGemmPipelineVersionE2EDF16_DF16_Lb0ELb1EEELb1ELNS_25InMemoryDataOperationEnumE1ELi2ELNS_10TailNumberE10EEEvNT_8ArgumentE
    .private_segment_fixed_size: 0
    .sgpr_count:     0
    .sgpr_spill_count: 0
    .symbol:         _ZN2ck27kernel_gemm_xdl_cshuffle_v3INS_28GridwiseGemm_xdl_cshuffle_v3INS_13tensor_layout4gemm8RowMajorENS3_11ColumnMajorES4_DF16_NS_7pk_i4_tEfDF16_DF16_NS_16tensor_operation12element_wise11PassThroughES9_S9_LNS7_6device18GemmSpecializationE0ELi256ELi1ELi128ELi128ELi128ELi64ELi8ELi16ELi16ELi16ELi8ELi2ENS_8SequenceIJLi8ELi32ELi1EEEENSC_IJLi1ELi0ELi2EEEESE_Li2ELi8ELi8ELb0ELi0ENSC_IJLi2ELi128ELi1EEEESE_SE_Li2ELi16ELi16ELb0ELi0ELi1ELi1ENSC_IJLi1ELi16ELi1ELi16EEEELi4ELNS_26BlockGemmPipelineSchedulerE0ELNS_24BlockGemmPipelineVersionE2EDF16_DF16_Lb0ELb1EEELb1ELNS_25InMemoryDataOperationEnumE1ELi2ELNS_10TailNumberE10EEEvNT_8ArgumentE.kd
    .uniform_work_group_size: 1
    .uses_dynamic_stack: false
    .vgpr_count:     0
    .vgpr_spill_count: 0
    .wavefront_size: 32
    .workgroup_processor_mode: 1
  - .args:
      - .offset:         0
        .size:           120
        .value_kind:     by_value
    .group_segment_fixed_size: 0
    .kernarg_segment_align: 8
    .kernarg_segment_size: 120
    .language:       OpenCL C
    .language_version:
      - 2
      - 0
    .max_flat_workgroup_size: 256
    .name:           _ZN2ck27kernel_gemm_xdl_cshuffle_v3INS_28GridwiseGemm_xdl_cshuffle_v3INS_13tensor_layout4gemm8RowMajorENS3_11ColumnMajorES4_DF16_NS_7pk_i4_tEfDF16_DF16_NS_16tensor_operation12element_wise11PassThroughES9_S9_LNS7_6device18GemmSpecializationE0ELi256ELi1ELi128ELi128ELi128ELi64ELi8ELi16ELi16ELi16ELi8ELi2ENS_8SequenceIJLi8ELi32ELi1EEEENSC_IJLi1ELi0ELi2EEEESE_Li2ELi8ELi8ELb0ELi0ENSC_IJLi2ELi128ELi1EEEESE_SE_Li2ELi16ELi16ELb0ELi0ELi1ELi1ENSC_IJLi1ELi16ELi1ELi16EEEELi4ELNS_26BlockGemmPipelineSchedulerE0ELNS_24BlockGemmPipelineVersionE2EDF16_DF16_Lb0ELb1EEELb1ELNS_25InMemoryDataOperationEnumE0ELi2ELNS_10TailNumberE10EEEvNT_8ArgumentE
    .private_segment_fixed_size: 0
    .sgpr_count:     0
    .sgpr_spill_count: 0
    .symbol:         _ZN2ck27kernel_gemm_xdl_cshuffle_v3INS_28GridwiseGemm_xdl_cshuffle_v3INS_13tensor_layout4gemm8RowMajorENS3_11ColumnMajorES4_DF16_NS_7pk_i4_tEfDF16_DF16_NS_16tensor_operation12element_wise11PassThroughES9_S9_LNS7_6device18GemmSpecializationE0ELi256ELi1ELi128ELi128ELi128ELi64ELi8ELi16ELi16ELi16ELi8ELi2ENS_8SequenceIJLi8ELi32ELi1EEEENSC_IJLi1ELi0ELi2EEEESE_Li2ELi8ELi8ELb0ELi0ENSC_IJLi2ELi128ELi1EEEESE_SE_Li2ELi16ELi16ELb0ELi0ELi1ELi1ENSC_IJLi1ELi16ELi1ELi16EEEELi4ELNS_26BlockGemmPipelineSchedulerE0ELNS_24BlockGemmPipelineVersionE2EDF16_DF16_Lb0ELb1EEELb1ELNS_25InMemoryDataOperationEnumE0ELi2ELNS_10TailNumberE10EEEvNT_8ArgumentE.kd
    .uniform_work_group_size: 1
    .uses_dynamic_stack: false
    .vgpr_count:     0
    .vgpr_spill_count: 0
    .wavefront_size: 32
    .workgroup_processor_mode: 1
  - .args:
      - .offset:         0
        .size:           120
        .value_kind:     by_value
    .group_segment_fixed_size: 0
    .kernarg_segment_align: 8
    .kernarg_segment_size: 120
    .language:       OpenCL C
    .language_version:
      - 2
      - 0
    .max_flat_workgroup_size: 256
    .name:           _ZN2ck27kernel_gemm_xdl_cshuffle_v3INS_28GridwiseGemm_xdl_cshuffle_v3INS_13tensor_layout4gemm8RowMajorENS3_11ColumnMajorES4_DF16_NS_7pk_i4_tEfDF16_DF16_NS_16tensor_operation12element_wise11PassThroughES9_S9_LNS7_6device18GemmSpecializationE0ELi256ELi1ELi128ELi128ELi128ELi64ELi8ELi16ELi16ELi16ELi8ELi1ENS_8SequenceIJLi8ELi32ELi1EEEENSC_IJLi1ELi0ELi2EEEESE_Li2ELi8ELi8ELb0ELi0ENSC_IJLi2ELi128ELi1EEEESE_SE_Li2ELi16ELi16ELb0ELi0ELi1ELi1ENSC_IJLi1ELi16ELi1ELi16EEEELi4ELNS_26BlockGemmPipelineSchedulerE0ELNS_24BlockGemmPipelineVersionE2EDF16_DF16_Lb0ELb1EEELb1ELNS_25InMemoryDataOperationEnumE1ELi2ELNS_10TailNumberE10EEEvNT_8ArgumentE
    .private_segment_fixed_size: 0
    .sgpr_count:     0
    .sgpr_spill_count: 0
    .symbol:         _ZN2ck27kernel_gemm_xdl_cshuffle_v3INS_28GridwiseGemm_xdl_cshuffle_v3INS_13tensor_layout4gemm8RowMajorENS3_11ColumnMajorES4_DF16_NS_7pk_i4_tEfDF16_DF16_NS_16tensor_operation12element_wise11PassThroughES9_S9_LNS7_6device18GemmSpecializationE0ELi256ELi1ELi128ELi128ELi128ELi64ELi8ELi16ELi16ELi16ELi8ELi1ENS_8SequenceIJLi8ELi32ELi1EEEENSC_IJLi1ELi0ELi2EEEESE_Li2ELi8ELi8ELb0ELi0ENSC_IJLi2ELi128ELi1EEEESE_SE_Li2ELi16ELi16ELb0ELi0ELi1ELi1ENSC_IJLi1ELi16ELi1ELi16EEEELi4ELNS_26BlockGemmPipelineSchedulerE0ELNS_24BlockGemmPipelineVersionE2EDF16_DF16_Lb0ELb1EEELb1ELNS_25InMemoryDataOperationEnumE1ELi2ELNS_10TailNumberE10EEEvNT_8ArgumentE.kd
    .uniform_work_group_size: 1
    .uses_dynamic_stack: false
    .vgpr_count:     0
    .vgpr_spill_count: 0
    .wavefront_size: 32
    .workgroup_processor_mode: 1
  - .args:
      - .offset:         0
        .size:           120
        .value_kind:     by_value
    .group_segment_fixed_size: 20480
    .kernarg_segment_align: 8
    .kernarg_segment_size: 120
    .language:       OpenCL C
    .language_version:
      - 2
      - 0
    .max_flat_workgroup_size: 256
    .name:           _ZN2ck27kernel_gemm_xdl_cshuffle_v3INS_28GridwiseGemm_xdl_cshuffle_v3INS_13tensor_layout4gemm8RowMajorENS3_11ColumnMajorES4_DF16_NS_7pk_i4_tEfDF16_DF16_NS_16tensor_operation12element_wise11PassThroughES9_S9_LNS7_6device18GemmSpecializationE0ELi256ELi1ELi128ELi128ELi128ELi64ELi8ELi16ELi16ELi16ELi8ELi1ENS_8SequenceIJLi8ELi32ELi1EEEENSC_IJLi1ELi0ELi2EEEESE_Li2ELi8ELi8ELb0ELi0ENSC_IJLi2ELi128ELi1EEEESE_SE_Li2ELi16ELi16ELb0ELi0ELi1ELi1ENSC_IJLi1ELi16ELi1ELi16EEEELi4ELNS_26BlockGemmPipelineSchedulerE0ELNS_24BlockGemmPipelineVersionE2EDF16_DF16_Lb0ELb1EEELb1ELNS_25InMemoryDataOperationEnumE0ELi2ELNS_10TailNumberE10EEEvNT_8ArgumentE
    .private_segment_fixed_size: 660
    .sgpr_count:     34
    .sgpr_spill_count: 0
    .symbol:         _ZN2ck27kernel_gemm_xdl_cshuffle_v3INS_28GridwiseGemm_xdl_cshuffle_v3INS_13tensor_layout4gemm8RowMajorENS3_11ColumnMajorES4_DF16_NS_7pk_i4_tEfDF16_DF16_NS_16tensor_operation12element_wise11PassThroughES9_S9_LNS7_6device18GemmSpecializationE0ELi256ELi1ELi128ELi128ELi128ELi64ELi8ELi16ELi16ELi16ELi8ELi1ENS_8SequenceIJLi8ELi32ELi1EEEENSC_IJLi1ELi0ELi2EEEESE_Li2ELi8ELi8ELb0ELi0ENSC_IJLi2ELi128ELi1EEEESE_SE_Li2ELi16ELi16ELb0ELi0ELi1ELi1ENSC_IJLi1ELi16ELi1ELi16EEEELi4ELNS_26BlockGemmPipelineSchedulerE0ELNS_24BlockGemmPipelineVersionE2EDF16_DF16_Lb0ELb1EEELb1ELNS_25InMemoryDataOperationEnumE0ELi2ELNS_10TailNumberE10EEEvNT_8ArgumentE.kd
    .uniform_work_group_size: 1
    .uses_dynamic_stack: false
    .vgpr_count:     256
    .vgpr_spill_count: 302
    .wavefront_size: 32
    .workgroup_processor_mode: 1
amdhsa.target:   amdgcn-amd-amdhsa--gfx1100
amdhsa.version:
  - 1
  - 2
...

	.end_amdgpu_metadata
